;; amdgpu-corpus repo=ROCm/aiter kind=harvested arch=n/a opt=n/a

/root/src/amdgpu-assembly/repos/ROCm__aiter/hsa/gfx942/fmha_v3_bwd/bwd_hd128_fp16_a32_psskddv.co:	file format elf64-amdgpu

Disassembly of section .text:

0000000000003e00 <_ZN5aiter31fmha_bwd_hd128_fp16_a32_psskddvE>:
	s_and_b32 s1, s1, 0xffff                                   // 000000003E00: 8601FF01 0000FFFF
	s_load_dwordx2 s[32:33], s[0:1], 0x0                       // 000000003E08: C0060800 00000000
	s_load_dwordx2 s[36:37], s[0:1], 0x10                      // 000000003E10: C0060900 00000010
	s_load_dwordx2 s[40:41], s[0:1], 0x20                      // 000000003E18: C0060A00 00000020
	s_load_dwordx2 s[8:9], s[0:1], 0x30                        // 000000003E20: C0060200 00000030
	s_load_dwordx2 s[12:13], s[0:1], 0x40                      // 000000003E28: C0060300 00000040
	s_load_dwordx2 s[16:17], s[0:1], 0x50                      // 000000003E30: C0060400 00000050
	s_load_dwordx2 s[20:21], s[0:1], 0x60                      // 000000003E38: C0060500 00000060
	s_load_dwordx2 s[24:25], s[0:1], 0x70                      // 000000003E40: C0060600 00000070
	s_load_dwordx2 s[28:29], s[0:1], 0x80                      // 000000003E48: C0060700 00000080
	s_load_dword s47, s[0:1], 0x90                             // 000000003E50: C0020BC0 00000090
	s_load_dword s48, s[0:1], 0xa0                             // 000000003E58: C0020C00 000000A0
	s_load_dword s49, s[0:1], 0xb0                             // 000000003E60: C0020C40 000000B0
	s_load_dword s74, s[0:1], 0xd0                             // 000000003E68: C0021280 000000D0
	s_load_dword s75, s[0:1], 0xe0                             // 000000003E70: C00212C0 000000E0
	s_load_dword s5, s[0:1], 0xf0                              // 000000003E78: C0020140 000000F0
	s_load_dword s44, s[0:1], 0x100                            // 000000003E80: C0020B00 00000100
	s_load_dword s84, s[0:1], 0x110                            // 000000003E88: C0021500 00000110
	s_load_dword s85, s[0:1], 0x120                            // 000000003E90: C0021540 00000120
	s_load_dword s6, s[0:1], 0x130                             // 000000003E98: C0020180 00000130
	s_load_dword s52, s[0:1], 0x140                            // 000000003EA0: C0020D00 00000140
	s_load_dword s50, s[0:1], 0x150                            // 000000003EA8: C0020C80 00000150
	s_load_dword s94, s[0:1], 0x160                            // 000000003EB0: C0021780 00000160
	s_load_dword s96, s[0:1], 0x180                            // 000000003EB8: C0021800 00000180
	s_load_dword s86, s[0:1], 0x190                            // 000000003EC0: C0021580 00000190
	s_load_dword s87, s[0:1], 0x1a0                            // 000000003EC8: C00215C0 000001A0
	s_load_dword s7, s[0:1], 0x1b0                             // 000000003ED0: C00201C0 000001B0
	s_load_dword s88, s[0:1], 0x1c0                            // 000000003ED8: C0021600 000001C0
	s_load_dword s89, s[0:1], 0x1d0                            // 000000003EE0: C0021640 000001D0
	s_load_dword s51, s[0:1], 0x1e0                            // 000000003EE8: C0020CC0 000001E0
	s_load_dword s90, s[0:1], 0x1f0                            // 000000003EF0: C0021680 000001F0
	s_load_dword s91, s[0:1], 0x200                            // 000000003EF8: C00216C0 00000200
	s_load_dword s92, s[0:1], 0x210                            // 000000003F00: C0021700 00000210
	s_load_dword s93, s[0:1], 0x220                            // 000000003F08: C0021740 00000220
	s_load_dword s53, s[0:1], 0x230                            // 000000003F10: C0020D40 00000230
	v_lshrrev_b32_e32 v1, 10, v0                               // 000000003F18: 2002008A
	v_lshrrev_b32_e32 v2, 10, v1                               // 000000003F1C: 2004028A
	v_and_b32_e32 v2, 0x3ff, v2                                // 000000003F20: 260404FF 000003FF
	v_and_b32_e32 v1, 0x3ff, v1                                // 000000003F28: 260202FF 000003FF
	v_and_b32_e32 v0, 0x3ff, v0                                // 000000003F30: 260000FF 000003FF
	v_lshrrev_b32_e32 v3, 6, v0                                // 000000003F38: 20060086
	v_and_b32_e32 v0, 63, v0                                   // 000000003F3C: 260000BF
	s_mov_b32 s2, s2                                           // 000000003F40: BE820002
	s_mov_b32 s3, s3                                           // 000000003F44: BE830003
	s_mov_b32 s4, s4                                           // 000000003F48: BE840004
	v_readfirstlane_b32 s46, v3                                // 000000003F4C: 7E5C0503
	s_waitcnt lgkmcnt(0)                                       // 000000003F50: BF8CC07F
	s_mov_b32 s11, 0x20000                                     // 000000003F54: BE8B00FF 00020000
	s_mov_b32 s15, 0x20000                                     // 000000003F5C: BE8F00FF 00020000
	s_mov_b32 s19, 0x20000                                     // 000000003F64: BE9300FF 00020000
	s_mov_b32 s23, 0x20000                                     // 000000003F6C: BE9700FF 00020000
	s_mov_b32 s27, 0x20000                                     // 000000003F74: BE9B00FF 00020000
	s_mov_b32 s31, 0x20000                                     // 000000003F7C: BE9F00FF 00020000
	s_mov_b32 s35, 0x20000                                     // 000000003F84: BEA300FF 00020000
	s_mov_b32 s39, 0x20000                                     // 000000003F8C: BEA700FF 00020000
	s_mov_b32 s43, 0x20000                                     // 000000003F94: BEAB00FF 00020000
	s_and_b32 s9, s9, 0xffff                                   // 000000003F9C: 8609FF09 0000FFFF
	s_and_b32 s13, s13, 0xffff                                 // 000000003FA4: 860DFF0D 0000FFFF
	s_and_b32 s17, s17, 0xffff                                 // 000000003FAC: 8611FF11 0000FFFF
	s_and_b32 s21, s21, 0xffff                                 // 000000003FB4: 8615FF15 0000FFFF
	s_and_b32 s25, s25, 0xffff                                 // 000000003FBC: 8619FF19 0000FFFF
	s_and_b32 s29, s29, 0xffff                                 // 000000003FC4: 861DFF1D 0000FFFF
	s_and_b32 s33, s33, 0xffff                                 // 000000003FCC: 8621FF21 0000FFFF
	s_and_b32 s37, s37, 0xffff                                 // 000000003FD4: 8625FF25 0000FFFF
	s_and_b32 s41, s41, 0xffff                                 // 000000003FDC: 8629FF29 0000FFFF
	s_or_b32 s9, s9, 0x40000                                   // 000000003FE4: 8709FF09 00040000
	s_or_b32 s13, s13, 0x40000                                 // 000000003FEC: 870DFF0D 00040000
	s_or_b32 s17, s17, 0x40000                                 // 000000003FF4: 8711FF11 00040000
	s_or_b32 s21, s21, 0x40000                                 // 000000003FFC: 8715FF15 00040000
	s_or_b32 s25, s25, 0x40000                                 // 000000004004: 8719FF19 00040000
	s_or_b32 s29, s29, 0x40000                                 // 00000000400C: 871DFF1D 00040000
	s_or_b32 s33, s33, 0x40000                                 // 000000004014: 8721FF21 00040000
	s_or_b32 s37, s37, 0x40000                                 // 00000000401C: 8725FF25 00040000
	s_or_b32 s41, s41, 0x40000                                 // 000000004024: 8729FF29 00040000
	v_accvgpr_write_b32 a255, 0                                // 00000000402C: D3D940FF 18000080
	v_mov_b32_e32 v251, 0                                      // 000000004034: 7FF60280
	s_mov_b32 s76, s8                                          // 000000004038: BECC0008
	s_mov_b32 s78, s12                                         // 00000000403C: BECE000C
	s_mov_b32 s80, s16                                         // 000000004040: BED00010
	s_mov_b32 s82, s20                                         // 000000004044: BED20014
	s_mov_b32 s77, s9                                          // 000000004048: BECD0009
	s_mov_b32 s79, s13                                         // 00000000404C: BECF000D
	s_mov_b32 s81, s17                                         // 000000004050: BED10011
	s_mov_b32 s83, s21                                         // 000000004054: BED30015
	s_mov_b32 s71, s3                                          // 000000004058: BEC70003
	v_cvt_f32_u32_e32 v28, s44                                 // 00000000405C: 7E380C2C
	s_sub_i32 s60, 0, s44                                      // 000000004060: 81BC2C80
	v_rcp_iflag_f32_e32 v28, v28                               // 000000004064: 7E38471C
	s_nop 0                                                    // 000000004068: BF800000
	v_mul_f32_e32 v28, 0x4f7ffffe, v28                         // 00000000406C: 0A3838FF 4F7FFFFE
	v_cvt_u32_f32_e32 v28, v28                                 // 000000004074: 7E380F1C
	v_mul_lo_u32 v29, s60, v28                                 // 000000004078: D285001D 0002383C
	v_mul_hi_u32 v29, v28, v29                                 // 000000004080: D286001D 00023B1C
	v_add_u32_e32 v28, v28, v29                                // 000000004088: 68383B1C
	v_mul_hi_u32 v28, s71, v28                                 // 00000000408C: D286001C 00023847
	v_mul_lo_u32 v29, v28, s44                                 // 000000004094: D285001D 0000591C
	v_sub_u32_e32 v31, s71, v29                                // 00000000409C: 6A3E3A47
	v_add_u32_e32 v30, 1, v28                                  // 0000000040A0: 683C3881
	v_cmp_le_u32_e32 vcc, s44, v31                             // 0000000040A4: 7D963E2C
	v_subrev_u32_e32 v29, s44, v31                             // 0000000040A8: 6C3A3E2C
	s_nop 0                                                    // 0000000040AC: BF800000
	v_cndmask_b32_e32 v28, v28, v30, vcc                       // 0000000040B0: 00383D1C
	v_cndmask_b32_e32 v31, v31, v29, vcc                       // 0000000040B4: 003E3B1F
	v_add_u32_e32 v29, 1, v28                                  // 0000000040B8: 683A3881
	v_cmp_le_u32_e32 vcc, s44, v31                             // 0000000040BC: 7D963E2C
	s_nop 1                                                    // 0000000040C0: BF800001
	v_cndmask_b32_e32 v31, v28, v29, vcc                       // 0000000040C4: 003E3B1C
	s_nop 3                                                    // 0000000040C8: BF800003
	v_readfirstlane_b32 s45, v31                               // 0000000040CC: 7E5A051F
	s_nop 3                                                    // 0000000040D0: BF800003
	v_mov_b32_e32 v28, s47                                     // 0000000040D4: 7E38022F
	v_mul_f32_e32 v28, s48, v28                                // 0000000040D8: 0A383830
	s_mov_b32 s66, 0                                           // 0000000040DC: BEC20080
	s_mov_b32 s58, s49                                         // 0000000040E0: BEBA0031
	s_mov_b32 s59, 0                                           // 0000000040E4: BEBB0080
	s_mov_b32 s63, 0x5040100                                   // 0000000040E8: BEBF00FF 05040100
	s_mov_b32 s64, 0x7060302                                   // 0000000040F0: BEC000FF 07060302
	v_readfirstlane_b32 s57, v28                               // 0000000040F8: 7E72051C
	v_mov_b32_e32 v30, 0x3020706                               // 0000000040FC: 7E3C02FF 03020706
	v_mov_b32_e32 v28, s63                                     // 000000004104: 7E38023F
	v_and_b32_e32 v29, 1, v0                                   // 000000004108: 263A0081
	v_cmp_eq_u32_e32 vcc, 1, v29                               // 00000000410C: 7D943A81
	s_mul_i32 s60, s94, 64                                     // 000000004110: 923CC05E
	s_mov_b32 s67, s60                                         // 000000004114: BEC3003C
	v_cndmask_b32_e32 v15, v28, v30, vcc                       // 000000004118: 001E3D1C
	v_mov_b32_e32 v151, 0xff800000                             // 00000000411C: 7F2E02FF FF800000
	s_mul_i32 s68, 4, s5                                       // 000000004124: 92440584
	s_mul_i32 s95, 4, s51                                      // 000000004128: 925F3384
	s_mov_b32 s69, 16                                          // 00000000412C: BEC50090
	s_mul_i32 s60, s6, 0xc0                                    // 000000004130: 923CFF06 000000C0
	s_mul_i32 s60, s2, s60                                     // 000000004138: 923C3C02
	s_mul_i32 s61, s45, s84                                    // 00000000413C: 923D542D
	s_add_u32 s54, s60, s61                                    // 000000004140: 80363D3C
	s_mul_i32 s60, s2, 0xc0                                    // 000000004144: 923CFF02 000000C0
	s_sub_i32 s60, s50, s60                                    // 00000000414C: 81BC3C32
	s_mul_i32 s60, s6, s60                                     // 000000004150: 923C3C06
	s_lshr_b32 s60, s60, 2                                     // 000000004154: 8F3C823C
	s_mov_b32 s14, s60                                         // 000000004158: BE8E003C
	s_add_u32 s12, s54, s78                                    // 00000000415C: 800C4E36
	s_addc_u32 s13, 0, s79                                     // 000000004160: 820D4F80
	s_mul_i32 s60, s4, s85                                     // 000000004164: 923C5504
	s_mul_hi_u32 s61, s4, s85                                  // 000000004168: 963D5504
	s_and_b32 s61, s61, 0xffff                                 // 00000000416C: 863DFF3D 0000FFFF
	s_add_u32 s12, s12, s60                                    // 000000004174: 800C3C0C
	s_addc_u32 s13, s13, s61                                   // 000000004178: 820D3D0D
	s_mul_i32 s60, s7, 0xc0                                    // 00000000417C: 923CFF07 000000C0
	s_mul_i32 s60, s2, s60                                     // 000000004184: 923C3C02
	s_mul_i32 s61, s45, s86                                    // 000000004188: 923D562D
	s_add_u32 s54, s60, s61                                    // 00000000418C: 80363D3C
	s_mul_i32 s60, s2, 0xc0                                    // 000000004190: 923CFF02 000000C0
	s_sub_i32 s60, s50, s60                                    // 000000004198: 81BC3C32
	s_mul_i32 s60, s7, s60                                     // 00000000419C: 923C3C07
	s_lshr_b32 s60, s60, 2                                     // 0000000041A0: 8F3C823C
	s_mov_b32 s18, s60                                         // 0000000041A4: BE92003C
	s_add_u32 s16, s54, s80                                    // 0000000041A8: 80105036
	s_addc_u32 s17, 0, s81                                     // 0000000041AC: 82115180
	s_mul_i32 s60, s4, s87                                     // 0000000041B0: 923C5704
	s_mul_hi_u32 s61, s4, s87                                  // 0000000041B4: 963D5704
	s_and_b32 s61, s61, 0xffff                                 // 0000000041B8: 863DFF3D 0000FFFF
	s_add_u32 s16, s16, s60                                    // 0000000041C0: 80103C10
	s_addc_u32 s17, s17, s61                                   // 0000000041C4: 82113D11
	s_mul_i32 s61, s3, s74                                     // 0000000041C8: 923D4A03
	s_mov_b32 s55, s61                                         // 0000000041CC: BEB7003D
	s_mul_i32 s60, s5, s49                                     // 0000000041D0: 923C3105
	s_lshr_b32 s60, s60, 2                                     // 0000000041D4: 8F3C823C
	s_mov_b32 s10, s60                                         // 0000000041D8: BE8A003C
	s_add_u32 s8, s55, s76                                     // 0000000041DC: 80084C37
	s_addc_u32 s9, 0, s77                                      // 0000000041E0: 82094D80
	s_mul_i32 s60, s4, s75                                     // 0000000041E4: 923C4B04
	s_mul_hi_u32 s61, s4, s75                                  // 0000000041E8: 963D4B04
	s_and_b32 s61, s61, 0xffff                                 // 0000000041EC: 863DFF3D 0000FFFF
	s_add_u32 s8, s8, s60                                      // 0000000041F4: 80083C08
	s_addc_u32 s9, s9, s61                                     // 0000000041F8: 82093D09
	s_mul_i32 s61, s3, s88                                     // 0000000041FC: 923D5803
	s_mov_b32 s56, s61                                         // 000000004200: BEB8003D
	s_mul_i32 s60, s51, s49                                    // 000000004204: 923C3133
	s_lshr_b32 s60, s60, 2                                     // 000000004208: 8F3C823C
	s_mov_b32 s22, s60                                         // 00000000420C: BE96003C
	s_add_u32 s20, s56, s82                                    // 000000004210: 80145238
	s_addc_u32 s21, 0, s83                                     // 000000004214: 82155380
	s_mul_i32 s60, s4, s89                                     // 000000004218: 923C5904
	s_mul_hi_u32 s61, s4, s89                                  // 00000000421C: 963D5904
	s_and_b32 s61, s61, 0xffff                                 // 000000004220: 863DFF3D 0000FFFF
	s_add_u32 s20, s20, s60                                    // 000000004228: 80143C14
	s_addc_u32 s21, s21, s61                                   // 00000000422C: 82153D15
	s_mul_i32 s62, s4, s96                                     // 000000004230: 923E6004
	s_mul_i32 s62, s62, s49                                    // 000000004234: 923E313E
	s_lshl_b32 s62, s62, 2                                     // 000000004238: 8E3E823E
	s_mul_i32 s61, s3, s49                                     // 00000000423C: 923D3103
	s_mul_i32 s61, 4, s61                                      // 000000004240: 923D3D84
	s_add_u32 s65, s61, s62                                    // 000000004244: 80413E3D
	s_mul_i32 s60, 4, s49                                      // 000000004248: 923C3184
	s_add_u32 s60, s60, s61                                    // 00000000424C: 803C3D3C
	s_add_u32 s60, s60, s62                                    // 000000004250: 803C3E3C
	s_lshr_b32 s60, s60, 2                                     // 000000004254: 8F3C823C
	s_mov_b32 s26, s60                                         // 000000004258: BE9A003C
	s_mov_b32 s30, s60                                         // 00000000425C: BE9E003C
	s_cmp_lt_u32 s46, 2                                        // 000000004260: BF0A822E
	s_cselect_b32 s24, s24, s28                                // 000000004264: 85181C18
	s_cselect_b32 s25, s25, s29                                // 000000004268: 85191D19
	s_cselect_b32 s26, s26, s30                                // 00000000426C: 851A1E1A
	s_cselect_b32 s27, s27, s31                                // 000000004270: 851B1F1B
	s_mov_b32 s71, s6                                          // 000000004274: BEC70006
	v_lshrrev_b32_e32 v28, 4, v0                               // 000000004278: 20380084
	v_and_b32_e32 v29, 1, v28                                  // 00000000427C: 263A3881
	v_lshlrev_b32_e32 v29, 1, v29                              // 000000004280: 243A3A81
	v_mul_i32_i24_e32 v29, s71, v29                            // 000000004284: 0C3A3A47
	v_and_b32_e32 v30, 2, v28                                  // 000000004288: 263C3882
	v_lshlrev_b32_e32 v30, 5, v30                              // 00000000428C: 243C3C85
	v_add_u32_e32 v29, v30, v29                                // 000000004290: 683A3B1E
	v_and_b32_e32 v28, 15, v0                                  // 000000004294: 2638008F
	v_lshlrev_b32_e32 v28, 2, v28                              // 000000004298: 24383882
	v_add_u32_e32 v1, v28, v29                                 // 00000000429C: 68023B1C
	s_and_b32 s60, 1, s46                                      // 0000000042A0: 863C2E81
	s_mul_i32 s60, s60, s71                                    // 0000000042A4: 923C473C
	s_mul_i32 s60, s60, 8                                      // 0000000042A8: 923C883C
	s_lshr_b32 s61, s46, 1                                     // 0000000042AC: 8F3D812E
	s_mul_i32 s61, s61, 0x80                                   // 0000000042B0: 923DFF3D 00000080
	s_add_u32 s60, s60, s61                                    // 0000000042B8: 803C3D3C
	v_add_u32_e32 v1, s60, v1                                  // 0000000042BC: 6802023C
	v_add_u32_e32 v2, s71, v1                                  // 0000000042C0: 68040247
	s_mul_i32 s60, 4, s71                                      // 0000000042C4: 923C4784
	v_add_u32_e32 v3, s60, v1                                  // 0000000042C8: 6806023C
	v_add_u32_e32 v4, s60, v2                                  // 0000000042CC: 6808043C
	s_mov_b32 s71, s7                                          // 0000000042D0: BEC70007
	v_lshrrev_b32_e32 v28, 4, v0                               // 0000000042D4: 20380084
	v_and_b32_e32 v29, 1, v28                                  // 0000000042D8: 263A3881
	v_lshlrev_b32_e32 v29, 1, v29                              // 0000000042DC: 243A3A81
	v_mul_i32_i24_e32 v29, s71, v29                            // 0000000042E0: 0C3A3A47
	v_and_b32_e32 v30, 2, v28                                  // 0000000042E4: 263C3882
	v_lshlrev_b32_e32 v30, 5, v30                              // 0000000042E8: 243C3C85
	v_add_u32_e32 v29, v30, v29                                // 0000000042EC: 683A3B1E
	v_and_b32_e32 v28, 15, v0                                  // 0000000042F0: 2638008F
	v_lshlrev_b32_e32 v28, 2, v28                              // 0000000042F4: 24383882
	v_add_u32_e32 v248, v28, v29                               // 0000000042F8: 69F03B1C
	s_and_b32 s60, 1, s46                                      // 0000000042FC: 863C2E81
	s_mul_i32 s60, s60, s71                                    // 000000004300: 923C473C
	s_mul_i32 s60, s60, 8                                      // 000000004304: 923C883C
	s_lshr_b32 s61, s46, 1                                     // 000000004308: 8F3D812E
	s_mul_i32 s61, s61, 0x80                                   // 00000000430C: 923DFF3D 00000080
	s_add_u32 s60, s60, s61                                    // 000000004314: 803C3D3C
	v_add_u32_e32 v248, s60, v248                              // 000000004318: 69F1F03C
	v_add_u32_e32 v249, s71, v248                              // 00000000431C: 69F3F047
	s_mul_i32 s60, 4, s71                                      // 000000004320: 923C4784
	v_add_u32_e32 v250, s60, v248                              // 000000004324: 69F5F03C
	v_add_u32_e32 v251, s60, v249                              // 000000004328: 69F7F23C
	v_lshrrev_b32_e32 v1, 2, v1                                // 00000000432C: 20020282
	v_lshrrev_b32_e32 v2, 2, v2                                // 000000004330: 20040482
	v_lshrrev_b32_e32 v3, 2, v3                                // 000000004334: 20060682
	;; [unrolled: 1-line block ×3, first 2 shown]
	v_lshrrev_b32_e32 v248, 2, v248                            // 00000000433C: 21F1F082
	v_lshrrev_b32_e32 v249, 2, v249                            // 000000004340: 21F3F282
	v_lshrrev_b32_e32 v250, 2, v250                            // 000000004344: 21F5F482
	v_lshrrev_b32_e32 v251, 2, v251                            // 000000004348: 21F7F682
	v_and_b32_e32 v9, 15, v0                                   // 00000000434C: 2612008F
	v_lshlrev_b32_e32 v9, 2, v9                                // 000000004350: 24121282
	v_add_u32_e32 v9, s65, v9                                  // 000000004354: 68121241
	v_lshrrev_b32_e32 v9, 2, v9                                // 000000004358: 20121282
	s_mov_b32 s70, s52                                         // 00000000435C: BEC60034
	v_lshrrev_b32_e32 v28, 4, v0                               // 000000004360: 20380084
	v_mul_i32_i24_e32 v5, s70, v28                             // 000000004364: 0C0A3846
	v_lshrrev_b32_e32 v5, 2, v5                                // 000000004368: 200A0A82
	v_and_b32_e32 v28, 15, v0                                  // 00000000436C: 2638008F
	v_lshlrev_b32_e32 v29, 2, v28                              // 000000004370: 243A3882
	v_add_u32_e32 v5, v29, v5                                  // 000000004374: 680A0B1D
	s_mul_i32 s60, 16, s70                                     // 000000004378: 923C4690
	s_mul_i32 s60, s46, s60                                    // 00000000437C: 923C3C2E
	v_lshlrev_b32_e32 v5, 2, v5                                // 000000004380: 240A0A82
	v_add_u32_e32 v5, s60, v5                                  // 000000004384: 680A0A3C
	s_mul_i32 s60, 0xc0, s52                                   // 000000004388: 923C34FF 000000C0
	s_mul_i32 s60, s2, s60                                     // 000000004390: 923C3C02
	s_mul_i32 s61, s3, s90                                     // 000000004394: 923D5A03
	s_mul_i32 s62, s4, s91                                     // 000000004398: 923E5B04
	s_add_u32 s60, s60, s61                                    // 00000000439C: 803C3D3C
	v_add_u32_e32 v5, s60, v5                                  // 0000000043A0: 680A0A3C
	v_lshrrev_b32_e32 v5, 2, v5                                // 0000000043A4: 200A0A82
	s_mul_i32 s60, s50, s52                                    // 0000000043A8: 923C3432
	s_add_u32 s60, s60, s61                                    // 0000000043AC: 803C3D3C
	s_lshr_b32 s60, s60, 2                                     // 0000000043B0: 8F3C823C
	s_mov_b32 s38, s60                                         // 0000000043B4: BEA6003C
	s_mul_hi_u32 s60, s4, s91                                  // 0000000043B8: 963C5B04
	s_and_b32 s60, s60, 0xffff                                 // 0000000043BC: 863CFF3C 0000FFFF
	s_add_u32 s36, s62, s36                                    // 0000000043C4: 8024243E
	s_addc_u32 s37, s60, s37                                   // 0000000043C8: 8225253C
	s_mov_b32 s70, s53                                         // 0000000043CC: BEC60035
	v_lshrrev_b32_e32 v28, 4, v0                               // 0000000043D0: 20380084
	v_mul_i32_i24_e32 v6, s70, v28                             // 0000000043D4: 0C0C3846
	v_lshrrev_b32_e32 v6, 2, v6                                // 0000000043D8: 200C0C82
	v_and_b32_e32 v28, 15, v0                                  // 0000000043DC: 2638008F
	v_lshlrev_b32_e32 v29, 2, v28                              // 0000000043E0: 243A3882
	v_add_u32_e32 v6, v29, v6                                  // 0000000043E4: 680C0D1D
	s_mul_i32 s60, 16, s70                                     // 0000000043E8: 923C4690
	s_mul_i32 s60, s46, s60                                    // 0000000043EC: 923C3C2E
	v_lshlrev_b32_e32 v6, 2, v6                                // 0000000043F0: 240C0C82
	v_add_u32_e32 v6, s60, v6                                  // 0000000043F4: 680C0C3C
	s_mul_i32 s60, 0xc0, s53                                   // 0000000043F8: 923C35FF 000000C0
	s_mul_i32 s60, s2, s60                                     // 000000004400: 923C3C02
	s_mul_i32 s61, s3, s92                                     // 000000004404: 923D5C03
	s_mul_i32 s62, s4, s93                                     // 000000004408: 923E5D04
	s_add_u32 s60, s60, s61                                    // 00000000440C: 803C3D3C
	v_add_u32_e32 v6, s60, v6                                  // 000000004410: 680C0C3C
	v_lshrrev_b32_e32 v6, 2, v6                                // 000000004414: 200C0C82
	s_mul_i32 s60, s50, s53                                    // 000000004418: 923C3532
	s_add_u32 s60, s60, s61                                    // 00000000441C: 803C3D3C
	s_lshr_b32 s60, s60, 2                                     // 000000004420: 8F3C823C
	s_mov_b32 s42, s60                                         // 000000004424: BEAA003C
	s_mul_hi_u32 s60, s4, s93                                  // 000000004428: 963C5D04
	s_and_b32 s60, s60, 0xffff                                 // 00000000442C: 863CFF3C 0000FFFF
	s_add_u32 s40, s62, s40                                    // 000000004434: 8028283E
	s_addc_u32 s41, s60, s41                                   // 000000004438: 8229293C
	v_lshrrev_b32_e32 v28, 5, v0                               // 00000000443C: 20380085
	v_mul_i32_i24_e64 v29, s94, 2                              // 000000004440: D106001D 0001045E
	v_mul_i32_i24_e32 v7, v29, v28                             // 000000004448: 0C0E391D
	v_and_b32_e32 v28, 31, v0                                  // 00000000444C: 2638009F
	v_add_u32_e32 v7, v28, v7                                  // 000000004450: 680E0F1C
	s_mul_i32 s60, 4, s94                                      // 000000004454: 923C5E84
	s_mul_i32 s60, s46, s60                                    // 000000004458: 923C3C2E
	v_add_u32_e32 v7, s60, v7                                  // 00000000445C: 680E0E3C
	v_lshlrev_b32_e32 v7, 2, v7                                // 000000004460: 240E0E82
	v_mul_i32_i24_e32 v29, 2, v29                              // 000000004464: 0C3A3A82
	v_add_u32_e32 v8, v29, v7                                  // 000000004468: 68100F1D
	s_mul_i32 s72, s94, s65                                    // 00000000446C: 9248415E
	s_mul_hi_u32 s62, s94, s65                                 // 000000004470: 963E415E
	s_and_b32 s62, s62, 0xffff                                 // 000000004474: 863EFF3E 0000FFFF
	s_add_u32 s32, s72, s32                                    // 00000000447C: 80202048
	s_addc_u32 s33, s62, s33                                   // 000000004480: 8221213E
	s_mul_i32 s60, s94, s49                                    // 000000004484: 923C315E
	s_lshl_b32 s60, s60, 2                                     // 000000004488: 8E3C823C
	s_mov_b32 s34, s60                                         // 00000000448C: BEA2003C
	s_mul_i32 s60, 3, s2                                       // 000000004490: 923C0283
	s_add_u32 s61, s50, 63                                     // 000000004494: 803DBF32
	s_lshr_b32 s61, s61, 6                                     // 000000004498: 8F3D863D
	s_sub_i32 s73, s61, s60                                    // 00000000449C: 81C93C3D
	s_cmp_lt_i32 s73, 3                                        // 0000000044A0: BF048349
	s_cselect_b32 s73, s73, 3                                  // 0000000044A4: 85498349
	s_mul_i32 s60, 0xc0, s2                                    // 0000000044A8: 923C02FF 000000C0
	s_sub_i32 s97, s50, s60                                    // 0000000044B0: 81E13C32
	s_lshr_b32 s60, s46, 1                                     // 0000000044B4: 8F3C812E
	s_lshl_b32 s60, s60, 8                                     // 0000000044B8: 8E3C883C
	s_add_u32 s74, 0xc600, s60                                 // 0000000044BC: 804A3CFF 0000C600
	s_add_u32 s75, 0x200, s74                                  // 0000000044C4: 804B4AFF 00000200
	s_mov_b32 m0, s74                                          // 0000000044CC: BEFC004A
	v_lshrrev_b32_e32 v28, 2, v0                               // 0000000044D0: 20380082
	v_and_b32_e32 v29, 3, v28                                  // 0000000044D4: 263A3883
	v_lshrrev_b32_e32 v30, 3, v28                              // 0000000044D8: 203C3883
	v_lshlrev_b32_e32 v30, 2, v30                              // 0000000044DC: 243C3C82
	v_add_u32_e32 v28, v30, v29                                // 0000000044E0: 68383B1E
	s_lshr_b32 s60, s46, 1                                     // 0000000044E4: 8F3C812E
	s_sub_i32 s60, 1, s60                                      // 0000000044E8: 81BC3C81
	v_mul_i32_i24_e64 v29, s60, 8                              // 0000000044EC: D106001D 0001103C
	v_mov_b32_e32 v30, s94                                     // 0000000044F4: 7E3C025E
	v_sub_u32_e64 v30, v30, 64                                 // 0000000044F8: D135001E 0001811E
	v_lshrrev_b32_e32 v30, 3, v30                              // 000000004500: 203C3C83
	v_add_u32_e32 v29, v30, v29                                // 000000004504: 683A3B1E
	v_cmp_lt_u32_e64 s[86:87], v28, v29                        // 000000004508: D0C90056 00023B1C
	s_mov_b32 s84, -1                                          // 000000004510: BED400C1
	s_mov_b32 s85, -1                                          // 000000004514: BED500C1
	v_and_b32_e32 v28, 15, v0                                  // 000000004518: 2638008F
	v_mov_b32_e32 v29, s94                                     // 00000000451C: 7E3A025E
	v_lshrrev_b32_e32 v29, 3, v29                              // 000000004520: 203A3A83
	v_cmp_lt_u32_e64 s[88:89], v28, v29                        // 000000004524: D0C90058 00023B1C
	v_and_b32_e32 v28, 31, v0                                  // 00000000452C: 2638009F
	v_lshrrev_b32_e32 v28, 1, v28                              // 000000004530: 20383881
	v_and_b32_e32 v29, 1, v28                                  // 000000004534: 263A3881
	v_lshlrev_b32_e32 v29, 4, v29                              // 000000004538: 243A3A84
	v_and_b32_e32 v30, 2, v28                                  // 00000000453C: 263C3882
	v_lshlrev_b32_e32 v30, 2, v30                              // 000000004540: 243C3C82
	v_add_u32_e32 v29, v30, v29                                // 000000004544: 683A3B1E
	v_and_b32_e32 v30, 12, v28                                 // 000000004548: 263C388C
	v_lshrrev_b32_e32 v30, 1, v30                              // 00000000454C: 203C3C81
	v_add_u32_e32 v29, v30, v29                                // 000000004550: 683A3B1E
	v_lshrrev_b32_e32 v28, 5, v0                               // 000000004554: 20380085
	v_mul_i32_i24_e32 v30, 0x80, v28                           // 000000004558: 0C3C38FF 00000080
	v_add_u32_e32 v29, v30, v29                                // 000000004560: 683A3B1E
	v_and_b32_e32 v30, 1, v0                                   // 000000004564: 263C0081
	v_add_u32_e32 v11, v30, v29                                // 000000004568: 68163B1E
	s_and_b32 s60, 1, s46                                      // 00000000456C: 863C2E81
	s_mul_i32 s60, s60, 64                                     // 000000004570: 923CC03C
	s_lshr_b32 s61, s46, 1                                     // 000000004574: 8F3D812E
	s_mul_i32 s61, s61, 0x220                                  // 000000004578: 923DFF3D 00000220
	s_add_u32 s60, s60, s61                                    // 000000004580: 803C3D3C
	v_add_u32_e32 v11, s60, v11                                // 000000004584: 6816163C
	v_lshlrev_b32_e32 v11, 2, v11                              // 000000004588: 24161682
	v_lshrrev_b32_e32 v28, 4, v0                               // 00000000458C: 20380084
	v_and_b32_e32 v29, 1, v28                                  // 000000004590: 263A3881
	v_lshlrev_b32_e32 v29, 4, v29                              // 000000004594: 243A3A84
	v_and_b32_e32 v30, 2, v28                                  // 000000004598: 263C3882
	v_mul_i32_i24_e32 v30, 4, v30                              // 00000000459C: 0C3C3C84
	v_add_u32_e32 v29, v30, v29                                // 0000000045A0: 683A3B1E
	v_and_b32_e32 v28, 15, v0                                  // 0000000045A4: 2638008F
	v_lshrrev_b32_e32 v30, 2, v28                              // 0000000045A8: 203C3882
	v_lshlrev_b32_e32 v30, 5, v30                              // 0000000045AC: 243C3C85
	v_add_u32_e32 v29, v30, v29                                // 0000000045B0: 683A3B1E
	v_and_b32_e32 v28, 3, v0                                   // 0000000045B4: 26380083
	v_and_b32_e32 v30, 1, v28                                  // 0000000045B8: 263C3881
	v_mul_i32_i24_e32 v30, 0x108, v30                          // 0000000045BC: 0C3C3CFF 00000108
	v_add_u32_e32 v29, v30, v29                                // 0000000045C4: 683A3B1E
	v_and_b32_e32 v30, 2, v28                                  // 0000000045C8: 263C3882
	v_lshlrev_b32_e32 v30, 1, v30                              // 0000000045CC: 243C3C81
	v_add_u32_e32 v10, v30, v29                                // 0000000045D0: 68143B1E
	v_lshlrev_b32_e32 v10, 2, v10                              // 0000000045D4: 24141482
	s_mul_i32 s60, s46, 0x1100                                 // 0000000045D8: 923CFF2E 00001100
	v_add_u32_e32 v22, s60, v10                                // 0000000045E0: 682C143C
	v_lshrrev_b32_e32 v28, 5, v0                               // 0000000045E4: 20380085
	v_mul_i32_i24_e32 v13, 0x80, v28                           // 0000000045E8: 0C1A38FF 00000080
	v_and_b32_e32 v28, 31, v0                                  // 0000000045F0: 2638009F
	v_and_b32_e32 v29, 7, v28                                  // 0000000045F4: 263A3887
	v_and_b32_e32 v30, 1, v29                                  // 0000000045F8: 263C3A81
	v_lshlrev_b32_e32 v30, 2, v30                              // 0000000045FC: 243C3C82
	v_add_u32_e32 v13, v30, v13                                // 000000004600: 681A1B1E
	v_and_b32_e32 v30, 2, v29                                  // 000000004604: 263C3A82
	v_lshlrev_b32_e32 v30, 3, v30                              // 000000004608: 243C3C83
	v_add_u32_e32 v13, v30, v13                                // 00000000460C: 681A1B1E
	v_and_b32_e32 v30, 4, v29                                  // 000000004610: 263C3A84
	v_lshlrev_b32_e32 v30, 1, v30                              // 000000004614: 243C3C81
	v_add_u32_e32 v13, v30, v13                                // 000000004618: 681A1B1E
	v_lshrrev_b32_e32 v29, 3, v28                              // 00000000461C: 203A3883
	v_and_b32_e32 v30, 1, v29                                  // 000000004620: 263C3A81
	v_lshlrev_b32_e32 v30, 1, v30                              // 000000004624: 243C3C81
	v_add_u32_e32 v13, v30, v13                                // 000000004628: 681A1B1E
	v_and_b32_e32 v30, 2, v29                                  // 00000000462C: 263C3A82
	v_lshrrev_b32_e32 v30, 1, v30                              // 000000004630: 203C3C81
	v_add_u32_e32 v13, v30, v13                                // 000000004634: 681A1B1E
	s_and_b32 s60, 1, s46                                      // 000000004638: 863C2E81
	s_mul_i32 s60, s60, 64                                     // 00000000463C: 923CC03C
	s_lshr_b32 s61, s46, 1                                     // 000000004640: 8F3D812E
	s_mul_i32 s61, s61, 0x220                                  // 000000004644: 923DFF3D 00000220
	s_add_u32 s60, s60, s61                                    // 00000000464C: 803C3D3C
	v_add_u32_e32 v13, s60, v13                                // 000000004650: 681A1A3C
	v_lshlrev_b32_e32 v13, 2, v13                              // 000000004654: 241A1A82
	v_and_b32_e32 v28, 15, v0                                  // 000000004658: 2638008F
	v_and_b32_e32 v30, 1, v28                                  // 00000000465C: 263C3881
	v_mul_i32_i24_e32 v12, 0x108, v30                          // 000000004660: 0C183CFF 00000108
	v_and_b32_e32 v30, 2, v28                                  // 000000004668: 263C3882
	v_lshlrev_b32_e32 v30, 1, v30                              // 00000000466C: 243C3C81
	v_add_u32_e32 v12, v30, v12                                // 000000004670: 6818191E
	v_and_b32_e32 v30, 4, v28                                  // 000000004674: 263C3884
	v_lshlrev_b32_e32 v30, 2, v30                              // 000000004678: 243C3C82
	v_add_u32_e32 v12, v30, v12                                // 00000000467C: 6818191E
	v_and_b32_e32 v30, 8, v28                                  // 000000004680: 263C3888
	v_add_u32_e32 v12, v30, v12                                // 000000004684: 6818191E
	v_lshrrev_b32_e32 v28, 4, v0                               // 000000004688: 20380084
	v_and_b32_e32 v30, 1, v28                                  // 00000000468C: 263C3881
	v_lshlrev_b32_e32 v30, 5, v30                              // 000000004690: 243C3C85
	v_add_u32_e32 v12, v30, v12                                // 000000004694: 6818191E
	v_and_b32_e32 v29, 2, v28                                  // 000000004698: 263A3882
	v_mul_i32_i24_e32 v30, 32, v29                             // 00000000469C: 0C3C3AA0
	v_mul_i32_i24_e32 v29, 0x220, v29                          // 0000000046A0: 0C3A3AFF 00000220
	v_add_u32_e32 v23, v29, v12                                // 0000000046A8: 682E191D
	v_add_u32_e32 v12, v30, v12                                // 0000000046AC: 6818191E
	v_lshlrev_b32_e32 v12, 2, v12                              // 0000000046B0: 24181882
	v_lshlrev_b32_e32 v23, 2, v23                              // 0000000046B4: 242E2E82
	s_and_b32 s60, 1, s46                                      // 0000000046B8: 863C2E81
	s_mul_i32 s60, s60, 0x200                                  // 0000000046BC: 923CFF3C 00000200
	s_lshr_b32 s61, s46, 1                                     // 0000000046C4: 8F3D812E
	s_mul_i32 s61, s61, 0x880                                  // 0000000046C8: 923DFF3D 00000880
	s_add_u32 s60, s60, s61                                    // 0000000046D0: 803C3D3C
	v_add_u32_e32 v23, s60, v23                                // 0000000046D4: 682E2E3C
	v_lshrrev_b32_e32 v28, 4, v0                               // 0000000046D8: 20380084
	v_mul_i32_i24_e32 v21, 4, v28                              // 0000000046DC: 0C2A3884
	v_and_b32_e32 v29, 3, v0                                   // 0000000046E0: 263A0083
	v_add_u32_e32 v21, v29, v21                                // 0000000046E4: 682A2B1D
	v_lshlrev_b32_e32 v21, 2, v21                              // 0000000046E8: 242A2A82
	v_lshrrev_b32_e32 v28, 4, v0                               // 0000000046EC: 20380084
	v_and_b32_e32 v29, 1, v28                                  // 0000000046F0: 263A3881
	v_mul_i32_i24_e32 v19, 0x100, v29                          // 0000000046F4: 0C263AFF 00000100
	v_and_b32_e32 v29, 2, v28                                  // 0000000046FC: 263A3882
	v_mul_i32_i24_e32 v29, 64, v29                             // 000000004700: 0C3A3AC0
	v_add_u32_e32 v19, v29, v19                                // 000000004704: 6826271D
	v_and_b32_e32 v28, 15, v0                                  // 000000004708: 2638008F
	v_mul_i32_i24_e32 v29, 2, v28                              // 00000000470C: 0C3A3882
	v_add_u32_e32 v19, v29, v19                                // 000000004710: 6826271D
	s_mul_i32 s60, s46, 32                                     // 000000004714: 923CA02E
	v_add_u32_e32 v19, s60, v19                                // 000000004718: 6826263C
	v_lshlrev_b32_e32 v19, 2, v19                              // 00000000471C: 24262682
	v_lshlrev_b32_e32 v20, 1, v0                               // 000000004720: 24280081
	s_mul_i32 s60, s46, 0x200                                  // 000000004724: 923CFF2E 00000200
	v_add_u32_e32 v20, s60, v20                                // 00000000472C: 6828283C
	v_lshlrev_b32_e32 v20, 2, v20                              // 000000004730: 24282882
	v_lshrrev_b32_e32 v28, 5, v0                               // 000000004734: 20380085
	v_mul_i32_i24_e32 v17, 64, v28                             // 000000004738: 0C2238C0
	v_and_b32_e32 v28, 31, v0                                  // 00000000473C: 2638009F
	v_and_b32_e32 v28, 3, v28                                  // 000000004740: 26383883
	v_and_b32_e32 v29, 1, v28                                  // 000000004744: 263A3881
	v_mul_i32_i24_e32 v29, 4, v29                              // 000000004748: 0C3A3A84
	v_add_u32_e32 v17, v29, v17                                // 00000000474C: 6822231D
	v_and_b32_e32 v29, 2, v28                                  // 000000004750: 263A3882
	v_mul_i32_i24_e32 v29, 0x44, v29                           // 000000004754: 0C3A3AFF 00000044
	v_add_u32_e32 v17, v29, v17                                // 00000000475C: 6822231D
	v_and_b32_e32 v28, 31, v0                                  // 000000004760: 2638009F
	v_lshrrev_b32_e32 v28, 2, v28                              // 000000004764: 20383882
	v_lshrrev_b32_e32 v30, 2, v28                              // 000000004768: 203C3882
	v_mul_i32_i24_e32 v29, 16, v30                             // 00000000476C: 0C3A3C90
	v_add_u32_e32 v17, v29, v17                                // 000000004770: 6822231D
	v_and_b32_e32 v29, 2, v28                                  // 000000004774: 263A3882
	v_lshlrev_b32_e32 v29, 4, v29                              // 000000004778: 243A3A84
	v_add_u32_e32 v17, v29, v17                                // 00000000477C: 6822231D
	v_and_b32_e32 v29, 1, v28                                  // 000000004780: 263A3881
	v_xor_b32_e32 v29, v30, v29                                // 000000004784: 2A3A3B1E
	v_mul_i32_i24_e32 v29, 8, v29                              // 000000004788: 0C3A3A88
	v_add_u32_e32 v17, v29, v17                                // 00000000478C: 6822231D
	v_lshlrev_b32_e32 v17, 2, v17                              // 000000004790: 24222282
	v_lshrrev_b32_e32 v28, 5, v0                               // 000000004794: 20380085
	v_mul_i32_i24_e32 v18, 32, v28                             // 000000004798: 0C2438A0
	v_and_b32_e32 v28, 31, v0                                  // 00000000479C: 2638009F
	v_and_b32_e32 v28, 3, v28                                  // 0000000047A0: 26383883
	v_and_b32_e32 v29, 1, v28                                  // 0000000047A4: 263A3881
	v_mul_i32_i24_e32 v29, 4, v29                              // 0000000047A8: 0C3A3A84
	v_add_u32_e32 v18, v29, v18                                // 0000000047AC: 6824251D
	v_and_b32_e32 v29, 2, v28                                  // 0000000047B0: 263A3882
	v_lshrrev_b32_e32 v29, 1, v29                              // 0000000047B4: 203A3A81
	v_add_u32_e32 v18, v29, v18                                // 0000000047B8: 6824251D
	v_and_b32_e32 v28, 31, v0                                  // 0000000047BC: 2638009F
	v_lshrrev_b32_e32 v28, 2, v28                              // 0000000047C0: 20383882
	v_and_b32_e32 v30, 1, v28                                  // 0000000047C4: 263C3881
	v_mul_i32_i24_e32 v29, 16, v30                             // 0000000047C8: 0C3A3C90
	v_add_u32_e32 v18, v29, v18                                // 0000000047CC: 6824251D
	v_and_b32_e32 v29, 2, v28                                  // 0000000047D0: 263A3882
	v_add_u32_e32 v18, v29, v18                                // 0000000047D4: 6824251D
	v_lshrrev_b32_e32 v29, 2, v28                              // 0000000047D8: 203A3882
	v_xor_b32_e32 v29, v30, v29                                // 0000000047DC: 2A3A3B1E
	v_mul_i32_i24_e32 v29, 8, v29                              // 0000000047E0: 0C3A3A88
	v_add_u32_e32 v18, v29, v18                                // 0000000047E4: 6824251D
	s_and_b32 s60, 1, s46                                      // 0000000047E8: 863C2E81
	s_mul_i32 s60, s60, 64                                     // 0000000047EC: 923CC03C
	s_lshr_b32 s61, s46, 1                                     // 0000000047F0: 8F3D812E
	s_mul_i32 s61, s61, 0x120                                  // 0000000047F4: 923DFF3D 00000120
	s_add_u32 s60, s60, s61                                    // 0000000047FC: 803C3D3C
	v_add_u32_e32 v18, s60, v18                                // 000000004800: 6824243C
	v_lshlrev_b32_e32 v18, 2, v18                              // 000000004804: 24242482
	v_mov_b32_e32 v152, 0                                      // 000000004808: 7F300280
	s_mov_b64 exec, s[86:87]                                   // 00000000480C: BEFE0156
	buffer_load_dword v152, v1, s[12:15], 0 idxen              // 000000004810: E0502000 80039801
	s_mov_b64 exec, s[84:85]                                   // 000000004818: BEFE0154
	v_mov_b32_e32 v153, 0                                      // 00000000481C: 7F320280
	s_mov_b64 exec, s[86:87]                                   // 000000004820: BEFE0156
	buffer_load_dword v153, v2, s[12:15], 0 idxen              // 000000004824: E0502000 80039902
	s_mov_b64 exec, s[84:85]                                   // 00000000482C: BEFE0154
	v_mov_b32_e32 v154, 0                                      // 000000004830: 7F340280
	s_mov_b64 exec, s[86:87]                                   // 000000004834: BEFE0156
	buffer_load_dword v154, v3, s[12:15], 0 idxen              // 000000004838: E0502000 80039A03
	s_mov_b64 exec, s[84:85]                                   // 000000004840: BEFE0154
	v_mov_b32_e32 v155, 0                                      // 000000004844: 7F360280
	s_mov_b64 exec, s[86:87]                                   // 000000004848: BEFE0156
	buffer_load_dword v155, v4, s[12:15], 0 idxen              // 00000000484C: E0502000 80039B04
	s_mov_b64 exec, s[84:85]                                   // 000000004854: BEFE0154
	s_mul_i32 s60, 4, s6                                       // 000000004858: 923C0684
	s_cmp_lt_i32 0, s73                                        // 00000000485C: BF044980
	s_cselect_b32 s60, s60, 0                                  // 000000004860: 853C803C
	v_add_u32_e32 v1, s60, v1                                  // 000000004864: 6802023C
	v_add_u32_e32 v2, s60, v2                                  // 000000004868: 6804043C
	v_add_u32_e32 v3, s60, v3                                  // 00000000486C: 6806063C
	v_add_u32_e32 v4, s60, v4                                  // 000000004870: 6808083C
	v_mov_b32_e32 v156, 0                                      // 000000004874: 7F380280
	s_mov_b64 exec, s[86:87]                                   // 000000004878: BEFE0156
	buffer_load_dword v156, v1, s[12:15], 0 idxen              // 00000000487C: E0502000 80039C01
	s_mov_b64 exec, s[84:85]                                   // 000000004884: BEFE0154
	v_mov_b32_e32 v157, 0                                      // 000000004888: 7F3A0280
	s_mov_b64 exec, s[86:87]                                   // 00000000488C: BEFE0156
	buffer_load_dword v157, v2, s[12:15], 0 idxen              // 000000004890: E0502000 80039D02
	s_mov_b64 exec, s[84:85]                                   // 000000004898: BEFE0154
	v_mov_b32_e32 v158, 0                                      // 00000000489C: 7F3C0280
	s_mov_b64 exec, s[86:87]                                   // 0000000048A0: BEFE0156
	buffer_load_dword v158, v3, s[12:15], 0 idxen              // 0000000048A4: E0502000 80039E03
	s_mov_b64 exec, s[84:85]                                   // 0000000048AC: BEFE0154
	v_mov_b32_e32 v159, 0                                      // 0000000048B0: 7F3E0280
	s_mov_b64 exec, s[86:87]                                   // 0000000048B4: BEFE0156
	buffer_load_dword v159, v4, s[12:15], 0 idxen              // 0000000048B8: E0502000 80039F04
	s_mov_b64 exec, s[84:85]                                   // 0000000048C0: BEFE0154
	s_mul_i32 s60, 4, s6                                       // 0000000048C4: 923C0684
	s_cmp_lt_i32 0, s73                                        // 0000000048C8: BF044980
	s_cselect_b32 s60, s60, 0                                  // 0000000048CC: 853C803C
	v_add_u32_e32 v1, s60, v1                                  // 0000000048D0: 6802023C
	v_add_u32_e32 v2, s60, v2                                  // 0000000048D4: 6804043C
	v_add_u32_e32 v3, s60, v3                                  // 0000000048D8: 6806063C
	v_add_u32_e32 v4, s60, v4                                  // 0000000048DC: 6808083C
	v_mov_b32_e32 v160, 0                                      // 0000000048E0: 7F400280
	s_mov_b64 exec, s[86:87]                                   // 0000000048E4: BEFE0156
	buffer_load_dword v160, v1, s[12:15], 0 idxen              // 0000000048E8: E0502000 8003A001
	s_mov_b64 exec, s[84:85]                                   // 0000000048F0: BEFE0154
	v_mov_b32_e32 v161, 0                                      // 0000000048F4: 7F420280
	s_mov_b64 exec, s[86:87]                                   // 0000000048F8: BEFE0156
	buffer_load_dword v161, v2, s[12:15], 0 idxen              // 0000000048FC: E0502000 8003A102
	s_mov_b64 exec, s[84:85]                                   // 000000004904: BEFE0154
	v_mov_b32_e32 v162, 0                                      // 000000004908: 7F440280
	s_mov_b64 exec, s[86:87]                                   // 00000000490C: BEFE0156
	buffer_load_dword v162, v3, s[12:15], 0 idxen              // 000000004910: E0502000 8003A203
	s_mov_b64 exec, s[84:85]                                   // 000000004918: BEFE0154
	v_mov_b32_e32 v163, 0                                      // 00000000491C: 7F460280
	s_mov_b64 exec, s[86:87]                                   // 000000004920: BEFE0156
	buffer_load_dword v163, v4, s[12:15], 0 idxen              // 000000004924: E0502000 8003A304
	s_mov_b64 exec, s[84:85]                                   // 00000000492C: BEFE0154
	s_mul_i32 s60, 4, s6                                       // 000000004930: 923C0684
	s_cmp_lt_i32 0, s73                                        // 000000004934: BF044980
	s_cselect_b32 s60, s60, 0                                  // 000000004938: 853C803C
	v_add_u32_e32 v1, s60, v1                                  // 00000000493C: 6802023C
	v_add_u32_e32 v2, s60, v2                                  // 000000004940: 6804043C
	v_add_u32_e32 v3, s60, v3                                  // 000000004944: 6806063C
	v_add_u32_e32 v4, s60, v4                                  // 000000004948: 6808083C
	v_mov_b32_e32 v164, 0                                      // 00000000494C: 7F480280
	s_mov_b64 exec, s[86:87]                                   // 000000004950: BEFE0156
	buffer_load_dword v164, v1, s[12:15], 0 idxen              // 000000004954: E0502000 8003A401
	s_mov_b64 exec, s[84:85]                                   // 00000000495C: BEFE0154
	v_mov_b32_e32 v165, 0                                      // 000000004960: 7F4A0280
	s_mov_b64 exec, s[86:87]                                   // 000000004964: BEFE0156
	buffer_load_dword v165, v2, s[12:15], 0 idxen              // 000000004968: E0502000 8003A502
	s_mov_b64 exec, s[84:85]                                   // 000000004970: BEFE0154
	v_mov_b32_e32 v166, 0                                      // 000000004974: 7F4C0280
	s_mov_b64 exec, s[86:87]                                   // 000000004978: BEFE0156
	buffer_load_dword v166, v3, s[12:15], 0 idxen              // 00000000497C: E0502000 8003A603
	s_mov_b64 exec, s[84:85]                                   // 000000004984: BEFE0154
	v_mov_b32_e32 v167, 0                                      // 000000004988: 7F4E0280
	s_mov_b64 exec, s[86:87]                                   // 00000000498C: BEFE0156
	buffer_load_dword v167, v4, s[12:15], 0 idxen              // 000000004990: E0502000 8003A704
	s_mov_b64 exec, s[84:85]                                   // 000000004998: BEFE0154
	s_mul_i32 s60, 4, s6                                       // 00000000499C: 923C0684
	s_cmp_lt_i32 1, s73                                        // 0000000049A0: BF044981
	s_cselect_b32 s60, s60, 0                                  // 0000000049A4: 853C803C
	v_add_u32_e32 v1, s60, v1                                  // 0000000049A8: 6802023C
	v_add_u32_e32 v2, s60, v2                                  // 0000000049AC: 6804043C
	v_add_u32_e32 v3, s60, v3                                  // 0000000049B0: 6806063C
	v_add_u32_e32 v4, s60, v4                                  // 0000000049B4: 6808083C
	v_mov_b32_e32 v168, 0                                      // 0000000049B8: 7F500280
	s_mov_b64 exec, s[86:87]                                   // 0000000049BC: BEFE0156
	buffer_load_dword v168, v1, s[12:15], 0 idxen              // 0000000049C0: E0502000 8003A801
	s_mov_b64 exec, s[84:85]                                   // 0000000049C8: BEFE0154
	v_mov_b32_e32 v169, 0                                      // 0000000049CC: 7F520280
	s_mov_b64 exec, s[86:87]                                   // 0000000049D0: BEFE0156
	buffer_load_dword v169, v2, s[12:15], 0 idxen              // 0000000049D4: E0502000 8003A902
	s_mov_b64 exec, s[84:85]                                   // 0000000049DC: BEFE0154
	v_mov_b32_e32 v170, 0                                      // 0000000049E0: 7F540280
	s_mov_b64 exec, s[86:87]                                   // 0000000049E4: BEFE0156
	buffer_load_dword v170, v3, s[12:15], 0 idxen              // 0000000049E8: E0502000 8003AA03
	s_mov_b64 exec, s[84:85]                                   // 0000000049F0: BEFE0154
	v_mov_b32_e32 v171, 0                                      // 0000000049F4: 7F560280
	s_mov_b64 exec, s[86:87]                                   // 0000000049F8: BEFE0156
	buffer_load_dword v171, v4, s[12:15], 0 idxen              // 0000000049FC: E0502000 8003AB04
	s_mov_b64 exec, s[84:85]                                   // 000000004A04: BEFE0154
	s_mul_i32 s60, 4, s6                                       // 000000004A08: 923C0684
	s_cmp_lt_i32 1, s73                                        // 000000004A0C: BF044981
	s_cselect_b32 s60, s60, 0                                  // 000000004A10: 853C803C
	v_add_u32_e32 v1, s60, v1                                  // 000000004A14: 6802023C
	v_add_u32_e32 v2, s60, v2                                  // 000000004A18: 6804043C
	v_add_u32_e32 v3, s60, v3                                  // 000000004A1C: 6806063C
	v_add_u32_e32 v4, s60, v4                                  // 000000004A20: 6808083C
	v_mov_b32_e32 v172, 0                                      // 000000004A24: 7F580280
	s_mov_b64 exec, s[86:87]                                   // 000000004A28: BEFE0156
	buffer_load_dword v172, v1, s[12:15], 0 idxen              // 000000004A2C: E0502000 8003AC01
	s_mov_b64 exec, s[84:85]                                   // 000000004A34: BEFE0154
	v_mov_b32_e32 v173, 0                                      // 000000004A38: 7F5A0280
	s_mov_b64 exec, s[86:87]                                   // 000000004A3C: BEFE0156
	buffer_load_dword v173, v2, s[12:15], 0 idxen              // 000000004A40: E0502000 8003AD02
	s_mov_b64 exec, s[84:85]                                   // 000000004A48: BEFE0154
	v_mov_b32_e32 v174, 0                                      // 000000004A4C: 7F5C0280
	s_mov_b64 exec, s[86:87]                                   // 000000004A50: BEFE0156
	buffer_load_dword v174, v3, s[12:15], 0 idxen              // 000000004A54: E0502000 8003AE03
	s_mov_b64 exec, s[84:85]                                   // 000000004A5C: BEFE0154
	v_mov_b32_e32 v175, 0                                      // 000000004A60: 7F5E0280
	s_mov_b64 exec, s[86:87]                                   // 000000004A64: BEFE0156
	buffer_load_dword v175, v4, s[12:15], 0 idxen              // 000000004A68: E0502000 8003AF04
	s_mov_b64 exec, s[84:85]                                   // 000000004A70: BEFE0154
	s_mul_i32 s60, 4, s6                                       // 000000004A74: 923C0684
	s_cmp_lt_i32 1, s73                                        // 000000004A78: BF044981
	s_cselect_b32 s60, s60, 0                                  // 000000004A7C: 853C803C
	v_add_u32_e32 v1, s60, v1                                  // 000000004A80: 6802023C
	v_add_u32_e32 v2, s60, v2                                  // 000000004A84: 6804043C
	v_add_u32_e32 v3, s60, v3                                  // 000000004A88: 6806063C
	v_add_u32_e32 v4, s60, v4                                  // 000000004A8C: 6808083C
	v_mov_b32_e32 v176, 0                                      // 000000004A90: 7F600280
	s_mov_b64 exec, s[86:87]                                   // 000000004A94: BEFE0156
	buffer_load_dword v176, v1, s[12:15], 0 idxen              // 000000004A98: E0502000 8003B001
	s_mov_b64 exec, s[84:85]                                   // 000000004AA0: BEFE0154
	v_mov_b32_e32 v177, 0                                      // 000000004AA4: 7F620280
	s_mov_b64 exec, s[86:87]                                   // 000000004AA8: BEFE0156
	buffer_load_dword v177, v2, s[12:15], 0 idxen              // 000000004AAC: E0502000 8003B102
	s_mov_b64 exec, s[84:85]                                   // 000000004AB4: BEFE0154
	v_mov_b32_e32 v178, 0                                      // 000000004AB8: 7F640280
	s_mov_b64 exec, s[86:87]                                   // 000000004ABC: BEFE0156
	buffer_load_dword v178, v3, s[12:15], 0 idxen              // 000000004AC0: E0502000 8003B203
	s_mov_b64 exec, s[84:85]                                   // 000000004AC8: BEFE0154
	v_mov_b32_e32 v179, 0                                      // 000000004ACC: 7F660280
	s_mov_b64 exec, s[86:87]                                   // 000000004AD0: BEFE0156
	buffer_load_dword v179, v4, s[12:15], 0 idxen              // 000000004AD4: E0502000 8003B304
	s_mov_b64 exec, s[84:85]                                   // 000000004ADC: BEFE0154
	s_mul_i32 s60, 4, s6                                       // 000000004AE0: 923C0684
	s_cmp_lt_i32 1, s73                                        // 000000004AE4: BF044981
	s_cselect_b32 s60, s60, 0                                  // 000000004AE8: 853C803C
	v_add_u32_e32 v1, s60, v1                                  // 000000004AEC: 6802023C
	v_add_u32_e32 v2, s60, v2                                  // 000000004AF0: 6804043C
	v_add_u32_e32 v3, s60, v3                                  // 000000004AF4: 6806063C
	v_add_u32_e32 v4, s60, v4                                  // 000000004AF8: 6808083C
	v_mov_b32_e32 v180, 0                                      // 000000004AFC: 7F680280
	s_mov_b64 exec, s[86:87]                                   // 000000004B00: BEFE0156
	buffer_load_dword v180, v1, s[12:15], 0 idxen              // 000000004B04: E0502000 8003B401
	s_mov_b64 exec, s[84:85]                                   // 000000004B0C: BEFE0154
	v_mov_b32_e32 v181, 0                                      // 000000004B10: 7F6A0280
	s_mov_b64 exec, s[86:87]                                   // 000000004B14: BEFE0156
	buffer_load_dword v181, v2, s[12:15], 0 idxen              // 000000004B18: E0502000 8003B502
	s_mov_b64 exec, s[84:85]                                   // 000000004B20: BEFE0154
	v_mov_b32_e32 v182, 0                                      // 000000004B24: 7F6C0280
	s_mov_b64 exec, s[86:87]                                   // 000000004B28: BEFE0156
	buffer_load_dword v182, v3, s[12:15], 0 idxen              // 000000004B2C: E0502000 8003B603
	s_mov_b64 exec, s[84:85]                                   // 000000004B34: BEFE0154
	v_mov_b32_e32 v183, 0                                      // 000000004B38: 7F6E0280
	s_mov_b64 exec, s[86:87]                                   // 000000004B3C: BEFE0156
	buffer_load_dword v183, v4, s[12:15], 0 idxen              // 000000004B40: E0502000 8003B704
	s_mov_b64 exec, s[84:85]                                   // 000000004B48: BEFE0154
	s_mul_i32 s60, 4, s6                                       // 000000004B4C: 923C0684
	s_cmp_lt_i32 2, s73                                        // 000000004B50: BF044982
	s_cselect_b32 s60, s60, 0                                  // 000000004B54: 853C803C
	v_add_u32_e32 v1, s60, v1                                  // 000000004B58: 6802023C
	v_add_u32_e32 v2, s60, v2                                  // 000000004B5C: 6804043C
	v_add_u32_e32 v3, s60, v3                                  // 000000004B60: 6806063C
	v_add_u32_e32 v4, s60, v4                                  // 000000004B64: 6808083C
	v_mov_b32_e32 v184, 0                                      // 000000004B68: 7F700280
	s_mov_b64 exec, s[86:87]                                   // 000000004B6C: BEFE0156
	buffer_load_dword v184, v1, s[12:15], 0 idxen              // 000000004B70: E0502000 8003B801
	s_mov_b64 exec, s[84:85]                                   // 000000004B78: BEFE0154
	v_mov_b32_e32 v185, 0                                      // 000000004B7C: 7F720280
	s_mov_b64 exec, s[86:87]                                   // 000000004B80: BEFE0156
	buffer_load_dword v185, v2, s[12:15], 0 idxen              // 000000004B84: E0502000 8003B902
	s_mov_b64 exec, s[84:85]                                   // 000000004B8C: BEFE0154
	v_mov_b32_e32 v186, 0                                      // 000000004B90: 7F740280
	s_mov_b64 exec, s[86:87]                                   // 000000004B94: BEFE0156
	buffer_load_dword v186, v3, s[12:15], 0 idxen              // 000000004B98: E0502000 8003BA03
	s_mov_b64 exec, s[84:85]                                   // 000000004BA0: BEFE0154
	v_mov_b32_e32 v187, 0                                      // 000000004BA4: 7F760280
	s_mov_b64 exec, s[86:87]                                   // 000000004BA8: BEFE0156
	buffer_load_dword v187, v4, s[12:15], 0 idxen              // 000000004BAC: E0502000 8003BB04
	s_mov_b64 exec, s[84:85]                                   // 000000004BB4: BEFE0154
	s_mul_i32 s60, 4, s6                                       // 000000004BB8: 923C0684
	s_cmp_lt_i32 2, s73                                        // 000000004BBC: BF044982
	s_cselect_b32 s60, s60, 0                                  // 000000004BC0: 853C803C
	v_add_u32_e32 v1, s60, v1                                  // 000000004BC4: 6802023C
	v_add_u32_e32 v2, s60, v2                                  // 000000004BC8: 6804043C
	v_add_u32_e32 v3, s60, v3                                  // 000000004BCC: 6806063C
	v_add_u32_e32 v4, s60, v4                                  // 000000004BD0: 6808083C
	v_mov_b32_e32 v188, 0                                      // 000000004BD4: 7F780280
	s_mov_b64 exec, s[86:87]                                   // 000000004BD8: BEFE0156
	buffer_load_dword v188, v1, s[12:15], 0 idxen              // 000000004BDC: E0502000 8003BC01
	s_mov_b64 exec, s[84:85]                                   // 000000004BE4: BEFE0154
	v_mov_b32_e32 v189, 0                                      // 000000004BE8: 7F7A0280
	s_mov_b64 exec, s[86:87]                                   // 000000004BEC: BEFE0156
	buffer_load_dword v189, v2, s[12:15], 0 idxen              // 000000004BF0: E0502000 8003BD02
	s_mov_b64 exec, s[84:85]                                   // 000000004BF8: BEFE0154
	v_mov_b32_e32 v190, 0                                      // 000000004BFC: 7F7C0280
	s_mov_b64 exec, s[86:87]                                   // 000000004C00: BEFE0156
	buffer_load_dword v190, v3, s[12:15], 0 idxen              // 000000004C04: E0502000 8003BE03
	s_mov_b64 exec, s[84:85]                                   // 000000004C0C: BEFE0154
	v_mov_b32_e32 v191, 0                                      // 000000004C10: 7F7E0280
	s_mov_b64 exec, s[86:87]                                   // 000000004C14: BEFE0156
	buffer_load_dword v191, v4, s[12:15], 0 idxen              // 000000004C18: E0502000 8003BF04
	s_mov_b64 exec, s[84:85]                                   // 000000004C20: BEFE0154
	s_mul_i32 s60, 4, s6                                       // 000000004C24: 923C0684
	s_cmp_lt_i32 2, s73                                        // 000000004C28: BF044982
	s_cselect_b32 s60, s60, 0                                  // 000000004C2C: 853C803C
	v_add_u32_e32 v1, s60, v1                                  // 000000004C30: 6802023C
	v_add_u32_e32 v2, s60, v2                                  // 000000004C34: 6804043C
	v_add_u32_e32 v3, s60, v3                                  // 000000004C38: 6806063C
	v_add_u32_e32 v4, s60, v4                                  // 000000004C3C: 6808083C
	v_mov_b32_e32 v192, 0                                      // 000000004C40: 7F800280
	s_mov_b64 exec, s[86:87]                                   // 000000004C44: BEFE0156
	buffer_load_dword v192, v1, s[12:15], 0 idxen              // 000000004C48: E0502000 8003C001
	s_mov_b64 exec, s[84:85]                                   // 000000004C50: BEFE0154
	v_mov_b32_e32 v193, 0                                      // 000000004C54: 7F820280
	s_mov_b64 exec, s[86:87]                                   // 000000004C58: BEFE0156
	buffer_load_dword v193, v2, s[12:15], 0 idxen              // 000000004C5C: E0502000 8003C102
	s_mov_b64 exec, s[84:85]                                   // 000000004C64: BEFE0154
	v_mov_b32_e32 v194, 0                                      // 000000004C68: 7F840280
	s_mov_b64 exec, s[86:87]                                   // 000000004C6C: BEFE0156
	buffer_load_dword v194, v3, s[12:15], 0 idxen              // 000000004C70: E0502000 8003C203
	s_mov_b64 exec, s[84:85]                                   // 000000004C78: BEFE0154
	v_mov_b32_e32 v195, 0                                      // 000000004C7C: 7F860280
	s_mov_b64 exec, s[86:87]                                   // 000000004C80: BEFE0156
	buffer_load_dword v195, v4, s[12:15], 0 idxen              // 000000004C84: E0502000 8003C304
	s_mov_b64 exec, s[84:85]                                   // 000000004C8C: BEFE0154
	s_mul_i32 s60, 4, s6                                       // 000000004C90: 923C0684
	s_cmp_lt_i32 2, s73                                        // 000000004C94: BF044982
	s_cselect_b32 s60, s60, 0                                  // 000000004C98: 853C803C
	v_add_u32_e32 v1, s60, v1                                  // 000000004C9C: 6802023C
	v_add_u32_e32 v2, s60, v2                                  // 000000004CA0: 6804043C
	v_add_u32_e32 v3, s60, v3                                  // 000000004CA4: 6806063C
	v_add_u32_e32 v4, s60, v4                                  // 000000004CA8: 6808083C
	v_mov_b32_e32 v196, 0                                      // 000000004CAC: 7F880280
	s_mov_b64 exec, s[86:87]                                   // 000000004CB0: BEFE0156
	buffer_load_dword v196, v1, s[12:15], 0 idxen              // 000000004CB4: E0502000 8003C401
	s_mov_b64 exec, s[84:85]                                   // 000000004CBC: BEFE0154
	v_mov_b32_e32 v197, 0                                      // 000000004CC0: 7F8A0280
	s_mov_b64 exec, s[86:87]                                   // 000000004CC4: BEFE0156
	buffer_load_dword v197, v2, s[12:15], 0 idxen              // 000000004CC8: E0502000 8003C502
	s_mov_b64 exec, s[84:85]                                   // 000000004CD0: BEFE0154
	v_mov_b32_e32 v198, 0                                      // 000000004CD4: 7F8C0280
	s_mov_b64 exec, s[86:87]                                   // 000000004CD8: BEFE0156
	buffer_load_dword v198, v3, s[12:15], 0 idxen              // 000000004CDC: E0502000 8003C603
	s_mov_b64 exec, s[84:85]                                   // 000000004CE4: BEFE0154
	v_mov_b32_e32 v199, 0                                      // 000000004CE8: 7F8E0280
	s_mov_b64 exec, s[86:87]                                   // 000000004CEC: BEFE0156
	buffer_load_dword v199, v4, s[12:15], 0 idxen              // 000000004CF0: E0502000 8003C704
	s_mov_b64 exec, s[84:85]                                   // 000000004CF8: BEFE0154
	s_mul_i32 s60, 4, s6                                       // 000000004CFC: 923C0684
	s_cmp_lt_i32 3, s73                                        // 000000004D00: BF044983
	s_cselect_b32 s60, s60, 0                                  // 000000004D04: 853C803C
	v_add_u32_e32 v1, s60, v1                                  // 000000004D08: 6802023C
	v_add_u32_e32 v2, s60, v2                                  // 000000004D0C: 6804043C
	v_add_u32_e32 v3, s60, v3                                  // 000000004D10: 6806063C
	v_add_u32_e32 v4, s60, v4                                  // 000000004D14: 6808083C
	s_waitcnt vmcnt(32) lgkmcnt(0)                             // 000000004D18: BF8C8070
	s_barrier                                                  // 000000004D1C: BF8A0000
	s_cmp_lt_i32 0, s73                                        // 000000004D20: BF044980
	s_cbranch_scc1 label_03DA                                  // 000000004D24: BF850010
	v_mov_b32_e32 v152, 0                                      // 000000004D28: 7F300280
	v_mov_b32_e32 v153, 0                                      // 000000004D2C: 7F320280
	v_mov_b32_e32 v154, 0                                      // 000000004D30: 7F340280
	v_mov_b32_e32 v155, 0                                      // 000000004D34: 7F360280
	v_mov_b32_e32 v156, 0                                      // 000000004D38: 7F380280
	v_mov_b32_e32 v157, 0                                      // 000000004D3C: 7F3A0280
	v_mov_b32_e32 v158, 0                                      // 000000004D40: 7F3C0280
	v_mov_b32_e32 v159, 0                                      // 000000004D44: 7F3E0280
	v_mov_b32_e32 v160, 0                                      // 000000004D48: 7F400280
	v_mov_b32_e32 v161, 0                                      // 000000004D4C: 7F420280
	v_mov_b32_e32 v162, 0                                      // 000000004D50: 7F440280
	v_mov_b32_e32 v163, 0                                      // 000000004D54: 7F460280
	v_mov_b32_e32 v164, 0                                      // 000000004D58: 7F480280
	v_mov_b32_e32 v165, 0                                      // 000000004D5C: 7F4A0280
	v_mov_b32_e32 v166, 0                                      // 000000004D60: 7F4C0280
	v_mov_b32_e32 v167, 0                                      // 000000004D64: 7F4E0280

0000000000004d68 <label_03DA>:
	v_perm_b32 v200, v153, v152, s63                           // 000000004D68: D1ED00C8 00FF3199
	v_perm_b32 v201, v153, v152, s64                           // 000000004D70: D1ED00C9 01033199
	v_perm_b32 v202, v155, v154, s63                           // 000000004D78: D1ED00CA 00FF359B
	v_perm_b32 v203, v155, v154, s64                           // 000000004D80: D1ED00CB 0103359B
	v_perm_b32 v204, v157, v156, s63                           // 000000004D88: D1ED00CC 00FF399D
	v_perm_b32 v205, v157, v156, s64                           // 000000004D90: D1ED00CD 0103399D
	v_perm_b32 v206, v159, v158, s63                           // 000000004D98: D1ED00CE 00FF3D9F
	v_perm_b32 v207, v159, v158, s64                           // 000000004DA0: D1ED00CF 01033D9F
	v_perm_b32 v208, v161, v160, s63                           // 000000004DA8: D1ED00D0 00FF41A1
	v_perm_b32 v209, v161, v160, s64                           // 000000004DB0: D1ED00D1 010341A1
	v_perm_b32 v210, v163, v162, s63                           // 000000004DB8: D1ED00D2 00FF45A3
	v_perm_b32 v211, v163, v162, s64                           // 000000004DC0: D1ED00D3 010345A3
	v_perm_b32 v212, v165, v164, s63                           // 000000004DC8: D1ED00D4 00FF49A5
	v_perm_b32 v213, v165, v164, s64                           // 000000004DD0: D1ED00D5 010349A5
	v_perm_b32 v214, v167, v166, s63                           // 000000004DD8: D1ED00D6 00FF4DA7
	v_perm_b32 v215, v167, v166, s64                           // 000000004DE0: D1ED00D7 01034DA7
	ds_write_b32 v13, v200 offset:17408                        // 000000004DE8: D81A4400 0000C80D
	ds_write_b32 v13, v201 offset:18464                        // 000000004DF0: D81A4820 0000C90D
	ds_write_b32 v13, v202 offset:17536                        // 000000004DF8: D81A4480 0000CA0D
	ds_write_b32 v13, v203 offset:18592                        // 000000004E00: D81A48A0 0000CB0D
	ds_write_b32 v13, v204 offset:21760                        // 000000004E08: D81A5500 0000CC0D
	ds_write_b32 v13, v205 offset:22816                        // 000000004E10: D81A5920 0000CD0D
	ds_write_b32 v13, v206 offset:21888                        // 000000004E18: D81A5580 0000CE0D
	ds_write_b32 v13, v207 offset:22944                        // 000000004E20: D81A59A0 0000CF0D
	ds_write_b32 v13, v208 offset:26112                        // 000000004E28: D81A6600 0000D00D
	ds_write_b32 v13, v209 offset:27168                        // 000000004E30: D81A6A20 0000D10D
	ds_write_b32 v13, v210 offset:26240                        // 000000004E38: D81A6680 0000D20D
	ds_write_b32 v13, v211 offset:27296                        // 000000004E40: D81A6AA0 0000D30D
	ds_write_b32 v13, v212 offset:30464                        // 000000004E48: D81A7700 0000D40D
	ds_write_b32 v13, v213 offset:31520                        // 000000004E50: D81A7B20 0000D50D
	ds_write_b32 v13, v214 offset:30592                        // 000000004E58: D81A7780 0000D60D
	ds_write_b32 v13, v215 offset:31648                        // 000000004E60: D81A7BA0 0000D70D
	ds_write_b32 v11, v152                                     // 000000004E68: D81A0000 0000980B
	ds_write_b32 v11, v153 offset:1056                         // 000000004E70: D81A0420 0000990B
	ds_write_b32 v11, v154 offset:128                          // 000000004E78: D81A0080 00009A0B
	ds_write_b32 v11, v155 offset:1184                         // 000000004E80: D81A04A0 00009B0B
	ds_write_b32 v11, v156 offset:4352                         // 000000004E88: D81A1100 00009C0B
	ds_write_b32 v11, v157 offset:5408                         // 000000004E90: D81A1520 00009D0B
	ds_write_b32 v11, v158 offset:4480                         // 000000004E98: D81A1180 00009E0B
	ds_write_b32 v11, v159 offset:5536                         // 000000004EA0: D81A15A0 00009F0B
	ds_write_b32 v11, v160 offset:8704                         // 000000004EA8: D81A2200 0000A00B
	ds_write_b32 v11, v161 offset:9760                         // 000000004EB0: D81A2620 0000A10B
	ds_write_b32 v11, v162 offset:8832                         // 000000004EB8: D81A2280 0000A20B
	ds_write_b32 v11, v163 offset:9888                         // 000000004EC0: D81A26A0 0000A30B
	ds_write_b32 v11, v164 offset:13056                        // 000000004EC8: D81A3300 0000A40B
	ds_write_b32 v11, v165 offset:14112                        // 000000004ED0: D81A3720 0000A50B
	ds_write_b32 v11, v166 offset:13184                        // 000000004ED8: D81A3380 0000A60B
	ds_write_b32 v11, v167 offset:14240                        // 000000004EE0: D81A37A0 0000A70B
	v_mov_b32_e32 v152, 0                                      // 000000004EE8: 7F300280
	s_mov_b64 exec, s[86:87]                                   // 000000004EEC: BEFE0156
	buffer_load_dword v152, v248, s[16:19], 0 idxen            // 000000004EF0: E0502000 800498F8
	s_mov_b64 exec, s[84:85]                                   // 000000004EF8: BEFE0154
	v_mov_b32_e32 v153, 0                                      // 000000004EFC: 7F320280
	s_mov_b64 exec, s[86:87]                                   // 000000004F00: BEFE0156
	buffer_load_dword v153, v249, s[16:19], 0 idxen            // 000000004F04: E0502000 800499F9
	s_mov_b64 exec, s[84:85]                                   // 000000004F0C: BEFE0154
	v_mov_b32_e32 v154, 0                                      // 000000004F10: 7F340280
	s_mov_b64 exec, s[86:87]                                   // 000000004F14: BEFE0156
	buffer_load_dword v154, v250, s[16:19], 0 idxen            // 000000004F18: E0502000 80049AFA
	s_mov_b64 exec, s[84:85]                                   // 000000004F20: BEFE0154
	v_mov_b32_e32 v155, 0                                      // 000000004F24: 7F360280
	s_mov_b64 exec, s[86:87]                                   // 000000004F28: BEFE0156
	buffer_load_dword v155, v251, s[16:19], 0 idxen            // 000000004F2C: E0502000 80049BFB
	s_mov_b64 exec, s[84:85]                                   // 000000004F34: BEFE0154
	s_mul_i32 s60, 4, s7                                       // 000000004F38: 923C0784
	s_cmp_lt_i32 0, s73                                        // 000000004F3C: BF044980
	s_cselect_b32 s60, s60, 0                                  // 000000004F40: 853C803C
	v_add_u32_e32 v248, s60, v248                              // 000000004F44: 69F1F03C
	v_add_u32_e32 v249, s60, v249                              // 000000004F48: 69F3F23C
	v_add_u32_e32 v250, s60, v250                              // 000000004F4C: 69F5F43C
	v_add_u32_e32 v251, s60, v251                              // 000000004F50: 69F7F63C
	v_mov_b32_e32 v156, 0                                      // 000000004F54: 7F380280
	s_mov_b64 exec, s[86:87]                                   // 000000004F58: BEFE0156
	buffer_load_dword v156, v248, s[16:19], 0 idxen            // 000000004F5C: E0502000 80049CF8
	s_mov_b64 exec, s[84:85]                                   // 000000004F64: BEFE0154
	v_mov_b32_e32 v157, 0                                      // 000000004F68: 7F3A0280
	s_mov_b64 exec, s[86:87]                                   // 000000004F6C: BEFE0156
	buffer_load_dword v157, v249, s[16:19], 0 idxen            // 000000004F70: E0502000 80049DF9
	s_mov_b64 exec, s[84:85]                                   // 000000004F78: BEFE0154
	v_mov_b32_e32 v158, 0                                      // 000000004F7C: 7F3C0280
	s_mov_b64 exec, s[86:87]                                   // 000000004F80: BEFE0156
	buffer_load_dword v158, v250, s[16:19], 0 idxen            // 000000004F84: E0502000 80049EFA
	s_mov_b64 exec, s[84:85]                                   // 000000004F8C: BEFE0154
	v_mov_b32_e32 v159, 0                                      // 000000004F90: 7F3E0280
	s_mov_b64 exec, s[86:87]                                   // 000000004F94: BEFE0156
	buffer_load_dword v159, v251, s[16:19], 0 idxen            // 000000004F98: E0502000 80049FFB
	s_mov_b64 exec, s[84:85]                                   // 000000004FA0: BEFE0154
	s_mul_i32 s60, 4, s7                                       // 000000004FA4: 923C0784
	s_cmp_lt_i32 0, s73                                        // 000000004FA8: BF044980
	s_cselect_b32 s60, s60, 0                                  // 000000004FAC: 853C803C
	v_add_u32_e32 v248, s60, v248                              // 000000004FB0: 69F1F03C
	v_add_u32_e32 v249, s60, v249                              // 000000004FB4: 69F3F23C
	v_add_u32_e32 v250, s60, v250                              // 000000004FB8: 69F5F43C
	v_add_u32_e32 v251, s60, v251                              // 000000004FBC: 69F7F63C
	v_mov_b32_e32 v160, 0                                      // 000000004FC0: 7F400280
	s_mov_b64 exec, s[86:87]                                   // 000000004FC4: BEFE0156
	buffer_load_dword v160, v248, s[16:19], 0 idxen            // 000000004FC8: E0502000 8004A0F8
	s_mov_b64 exec, s[84:85]                                   // 000000004FD0: BEFE0154
	v_mov_b32_e32 v161, 0                                      // 000000004FD4: 7F420280
	s_mov_b64 exec, s[86:87]                                   // 000000004FD8: BEFE0156
	buffer_load_dword v161, v249, s[16:19], 0 idxen            // 000000004FDC: E0502000 8004A1F9
	s_mov_b64 exec, s[84:85]                                   // 000000004FE4: BEFE0154
	v_mov_b32_e32 v162, 0                                      // 000000004FE8: 7F440280
	s_mov_b64 exec, s[86:87]                                   // 000000004FEC: BEFE0156
	buffer_load_dword v162, v250, s[16:19], 0 idxen            // 000000004FF0: E0502000 8004A2FA
	s_mov_b64 exec, s[84:85]                                   // 000000004FF8: BEFE0154
	v_mov_b32_e32 v163, 0                                      // 000000004FFC: 7F460280
	s_mov_b64 exec, s[86:87]                                   // 000000005000: BEFE0156
	buffer_load_dword v163, v251, s[16:19], 0 idxen            // 000000005004: E0502000 8004A3FB
	s_mov_b64 exec, s[84:85]                                   // 00000000500C: BEFE0154
	s_mul_i32 s60, 4, s7                                       // 000000005010: 923C0784
	s_cmp_lt_i32 0, s73                                        // 000000005014: BF044980
	s_cselect_b32 s60, s60, 0                                  // 000000005018: 853C803C
	v_add_u32_e32 v248, s60, v248                              // 00000000501C: 69F1F03C
	v_add_u32_e32 v249, s60, v249                              // 000000005020: 69F3F23C
	v_add_u32_e32 v250, s60, v250                              // 000000005024: 69F5F43C
	v_add_u32_e32 v251, s60, v251                              // 000000005028: 69F7F63C
	v_mov_b32_e32 v164, 0                                      // 00000000502C: 7F480280
	s_mov_b64 exec, s[86:87]                                   // 000000005030: BEFE0156
	buffer_load_dword v164, v248, s[16:19], 0 idxen            // 000000005034: E0502000 8004A4F8
	s_mov_b64 exec, s[84:85]                                   // 00000000503C: BEFE0154
	v_mov_b32_e32 v165, 0                                      // 000000005040: 7F4A0280
	s_mov_b64 exec, s[86:87]                                   // 000000005044: BEFE0156
	buffer_load_dword v165, v249, s[16:19], 0 idxen            // 000000005048: E0502000 8004A5F9
	s_mov_b64 exec, s[84:85]                                   // 000000005050: BEFE0154
	v_mov_b32_e32 v166, 0                                      // 000000005054: 7F4C0280
	s_mov_b64 exec, s[86:87]                                   // 000000005058: BEFE0156
	buffer_load_dword v166, v250, s[16:19], 0 idxen            // 00000000505C: E0502000 8004A6FA
	s_mov_b64 exec, s[84:85]                                   // 000000005064: BEFE0154
	v_mov_b32_e32 v167, 0                                      // 000000005068: 7F4E0280
	s_mov_b64 exec, s[86:87]                                   // 00000000506C: BEFE0156
	buffer_load_dword v167, v251, s[16:19], 0 idxen            // 000000005070: E0502000 8004A7FB
	s_mov_b64 exec, s[84:85]                                   // 000000005078: BEFE0154
	s_mul_i32 s60, 4, s7                                       // 00000000507C: 923C0784
	s_cmp_lt_i32 1, s73                                        // 000000005080: BF044981
	s_cselect_b32 s60, s60, 0                                  // 000000005084: 853C803C
	v_add_u32_e32 v248, s60, v248                              // 000000005088: 69F1F03C
	v_add_u32_e32 v249, s60, v249                              // 00000000508C: 69F3F23C
	v_add_u32_e32 v250, s60, v250                              // 000000005090: 69F5F43C
	v_add_u32_e32 v251, s60, v251                              // 000000005094: 69F7F63C
	s_waitcnt lgkmcnt(0)                                       // 000000005098: BF8CC07F
	s_barrier                                                  // 00000000509C: BF8A0000
	ds_read_b128 a[48:51], v23 offset:17408                    // 0000000050A0: DBFE4400 30000017
	ds_read_b128 a[52:55], v23 offset:17664                    // 0000000050A8: DBFE4500 34000017
	ds_read_b128 a[56:59], v23 offset:26112                    // 0000000050B0: DBFE6600 38000017
	ds_read_b128 a[60:63], v23 offset:26368                    // 0000000050B8: DBFE6700 3C000017
	ds_read_b128 a[0:3], v22                                   // 0000000050C0: DBFE0000 00000016
	ds_read_b128 a[4:7], v22 offset:512                        // 0000000050C8: DBFE0200 04000016
	ds_read_b128 a[8:11], v22 offset:2176                      // 0000000050D0: DBFE0880 08000016
	ds_read_b128 a[12:15], v22 offset:2688                     // 0000000050D8: DBFE0A80 0C000016
	s_waitcnt vmcnt(32) lgkmcnt(0)                             // 0000000050E0: BF8C8070
	s_barrier                                                  // 0000000050E4: BF8A0000
	s_cmp_lt_i32 1, s73                                        // 0000000050E8: BF044981
	s_cbranch_scc1 label_04CC                                  // 0000000050EC: BF850010
	v_mov_b32_e32 v168, 0                                      // 0000000050F0: 7F500280
	v_mov_b32_e32 v169, 0                                      // 0000000050F4: 7F520280
	v_mov_b32_e32 v170, 0                                      // 0000000050F8: 7F540280
	v_mov_b32_e32 v171, 0                                      // 0000000050FC: 7F560280
	v_mov_b32_e32 v172, 0                                      // 000000005100: 7F580280
	v_mov_b32_e32 v173, 0                                      // 000000005104: 7F5A0280
	v_mov_b32_e32 v174, 0                                      // 000000005108: 7F5C0280
	v_mov_b32_e32 v175, 0                                      // 00000000510C: 7F5E0280
	v_mov_b32_e32 v176, 0                                      // 000000005110: 7F600280
	v_mov_b32_e32 v177, 0                                      // 000000005114: 7F620280
	v_mov_b32_e32 v178, 0                                      // 000000005118: 7F640280
	v_mov_b32_e32 v179, 0                                      // 00000000511C: 7F660280
	v_mov_b32_e32 v180, 0                                      // 000000005120: 7F680280
	v_mov_b32_e32 v181, 0                                      // 000000005124: 7F6A0280
	v_mov_b32_e32 v182, 0                                      // 000000005128: 7F6C0280
	v_mov_b32_e32 v183, 0                                      // 00000000512C: 7F6E0280

0000000000005130 <label_04CC>:
	v_perm_b32 v200, v169, v168, s63                           // 000000005130: D1ED00C8 00FF51A9
	v_perm_b32 v201, v169, v168, s64                           // 000000005138: D1ED00C9 010351A9
	v_perm_b32 v202, v171, v170, s63                           // 000000005140: D1ED00CA 00FF55AB
	v_perm_b32 v203, v171, v170, s64                           // 000000005148: D1ED00CB 010355AB
	v_perm_b32 v204, v173, v172, s63                           // 000000005150: D1ED00CC 00FF59AD
	v_perm_b32 v205, v173, v172, s64                           // 000000005158: D1ED00CD 010359AD
	v_perm_b32 v206, v175, v174, s63                           // 000000005160: D1ED00CE 00FF5DAF
	v_perm_b32 v207, v175, v174, s64                           // 000000005168: D1ED00CF 01035DAF
	v_perm_b32 v208, v177, v176, s63                           // 000000005170: D1ED00D0 00FF61B1
	v_perm_b32 v209, v177, v176, s64                           // 000000005178: D1ED00D1 010361B1
	v_perm_b32 v210, v179, v178, s63                           // 000000005180: D1ED00D2 00FF65B3
	v_perm_b32 v211, v179, v178, s64                           // 000000005188: D1ED00D3 010365B3
	v_perm_b32 v212, v181, v180, s63                           // 000000005190: D1ED00D4 00FF69B5
	v_perm_b32 v213, v181, v180, s64                           // 000000005198: D1ED00D5 010369B5
	v_perm_b32 v214, v183, v182, s63                           // 0000000051A0: D1ED00D6 00FF6DB7
	v_perm_b32 v215, v183, v182, s64                           // 0000000051A8: D1ED00D7 01036DB7
	ds_write_b32 v13, v200 offset:17408                        // 0000000051B0: D81A4400 0000C80D
	ds_write_b32 v13, v201 offset:18464                        // 0000000051B8: D81A4820 0000C90D
	ds_write_b32 v13, v202 offset:17536                        // 0000000051C0: D81A4480 0000CA0D
	ds_write_b32 v13, v203 offset:18592                        // 0000000051C8: D81A48A0 0000CB0D
	ds_write_b32 v13, v204 offset:21760                        // 0000000051D0: D81A5500 0000CC0D
	ds_write_b32 v13, v205 offset:22816                        // 0000000051D8: D81A5920 0000CD0D
	ds_write_b32 v13, v206 offset:21888                        // 0000000051E0: D81A5580 0000CE0D
	ds_write_b32 v13, v207 offset:22944                        // 0000000051E8: D81A59A0 0000CF0D
	ds_write_b32 v13, v208 offset:26112                        // 0000000051F0: D81A6600 0000D00D
	ds_write_b32 v13, v209 offset:27168                        // 0000000051F8: D81A6A20 0000D10D
	ds_write_b32 v13, v210 offset:26240                        // 000000005200: D81A6680 0000D20D
	ds_write_b32 v13, v211 offset:27296                        // 000000005208: D81A6AA0 0000D30D
	ds_write_b32 v13, v212 offset:30464                        // 000000005210: D81A7700 0000D40D
	ds_write_b32 v13, v213 offset:31520                        // 000000005218: D81A7B20 0000D50D
	ds_write_b32 v13, v214 offset:30592                        // 000000005220: D81A7780 0000D60D
	ds_write_b32 v13, v215 offset:31648                        // 000000005228: D81A7BA0 0000D70D
	ds_write_b32 v11, v168                                     // 000000005230: D81A0000 0000A80B
	ds_write_b32 v11, v169 offset:1056                         // 000000005238: D81A0420 0000A90B
	ds_write_b32 v11, v170 offset:128                          // 000000005240: D81A0080 0000AA0B
	ds_write_b32 v11, v171 offset:1184                         // 000000005248: D81A04A0 0000AB0B
	ds_write_b32 v11, v172 offset:4352                         // 000000005250: D81A1100 0000AC0B
	ds_write_b32 v11, v173 offset:5408                         // 000000005258: D81A1520 0000AD0B
	ds_write_b32 v11, v174 offset:4480                         // 000000005260: D81A1180 0000AE0B
	ds_write_b32 v11, v175 offset:5536                         // 000000005268: D81A15A0 0000AF0B
	ds_write_b32 v11, v176 offset:8704                         // 000000005270: D81A2200 0000B00B
	ds_write_b32 v11, v177 offset:9760                         // 000000005278: D81A2620 0000B10B
	ds_write_b32 v11, v178 offset:8832                         // 000000005280: D81A2280 0000B20B
	ds_write_b32 v11, v179 offset:9888                         // 000000005288: D81A26A0 0000B30B
	ds_write_b32 v11, v180 offset:13056                        // 000000005290: D81A3300 0000B40B
	ds_write_b32 v11, v181 offset:14112                        // 000000005298: D81A3720 0000B50B
	ds_write_b32 v11, v182 offset:13184                        // 0000000052A0: D81A3380 0000B60B
	ds_write_b32 v11, v183 offset:14240                        // 0000000052A8: D81A37A0 0000B70B
	v_mov_b32_e32 v168, 0                                      // 0000000052B0: 7F500280
	s_mov_b64 exec, s[86:87]                                   // 0000000052B4: BEFE0156
	buffer_load_dword v168, v248, s[16:19], 0 idxen            // 0000000052B8: E0502000 8004A8F8
	s_mov_b64 exec, s[84:85]                                   // 0000000052C0: BEFE0154
	v_mov_b32_e32 v169, 0                                      // 0000000052C4: 7F520280
	s_mov_b64 exec, s[86:87]                                   // 0000000052C8: BEFE0156
	buffer_load_dword v169, v249, s[16:19], 0 idxen            // 0000000052CC: E0502000 8004A9F9
	s_mov_b64 exec, s[84:85]                                   // 0000000052D4: BEFE0154
	v_mov_b32_e32 v170, 0                                      // 0000000052D8: 7F540280
	s_mov_b64 exec, s[86:87]                                   // 0000000052DC: BEFE0156
	buffer_load_dword v170, v250, s[16:19], 0 idxen            // 0000000052E0: E0502000 8004AAFA
	s_mov_b64 exec, s[84:85]                                   // 0000000052E8: BEFE0154
	v_mov_b32_e32 v171, 0                                      // 0000000052EC: 7F560280
	s_mov_b64 exec, s[86:87]                                   // 0000000052F0: BEFE0156
	buffer_load_dword v171, v251, s[16:19], 0 idxen            // 0000000052F4: E0502000 8004ABFB
	s_mov_b64 exec, s[84:85]                                   // 0000000052FC: BEFE0154
	s_mul_i32 s60, 4, s7                                       // 000000005300: 923C0784
	s_cmp_lt_i32 1, s73                                        // 000000005304: BF044981
	s_cselect_b32 s60, s60, 0                                  // 000000005308: 853C803C
	v_add_u32_e32 v248, s60, v248                              // 00000000530C: 69F1F03C
	v_add_u32_e32 v249, s60, v249                              // 000000005310: 69F3F23C
	v_add_u32_e32 v250, s60, v250                              // 000000005314: 69F5F43C
	v_add_u32_e32 v251, s60, v251                              // 000000005318: 69F7F63C
	v_mov_b32_e32 v172, 0                                      // 00000000531C: 7F580280
	s_mov_b64 exec, s[86:87]                                   // 000000005320: BEFE0156
	buffer_load_dword v172, v248, s[16:19], 0 idxen            // 000000005324: E0502000 8004ACF8
	s_mov_b64 exec, s[84:85]                                   // 00000000532C: BEFE0154
	v_mov_b32_e32 v173, 0                                      // 000000005330: 7F5A0280
	s_mov_b64 exec, s[86:87]                                   // 000000005334: BEFE0156
	buffer_load_dword v173, v249, s[16:19], 0 idxen            // 000000005338: E0502000 8004ADF9
	s_mov_b64 exec, s[84:85]                                   // 000000005340: BEFE0154
	v_mov_b32_e32 v174, 0                                      // 000000005344: 7F5C0280
	s_mov_b64 exec, s[86:87]                                   // 000000005348: BEFE0156
	buffer_load_dword v174, v250, s[16:19], 0 idxen            // 00000000534C: E0502000 8004AEFA
	s_mov_b64 exec, s[84:85]                                   // 000000005354: BEFE0154
	v_mov_b32_e32 v175, 0                                      // 000000005358: 7F5E0280
	s_mov_b64 exec, s[86:87]                                   // 00000000535C: BEFE0156
	buffer_load_dword v175, v251, s[16:19], 0 idxen            // 000000005360: E0502000 8004AFFB
	s_mov_b64 exec, s[84:85]                                   // 000000005368: BEFE0154
	s_mul_i32 s60, 4, s7                                       // 00000000536C: 923C0784
	s_cmp_lt_i32 1, s73                                        // 000000005370: BF044981
	s_cselect_b32 s60, s60, 0                                  // 000000005374: 853C803C
	v_add_u32_e32 v248, s60, v248                              // 000000005378: 69F1F03C
	v_add_u32_e32 v249, s60, v249                              // 00000000537C: 69F3F23C
	v_add_u32_e32 v250, s60, v250                              // 000000005380: 69F5F43C
	v_add_u32_e32 v251, s60, v251                              // 000000005384: 69F7F63C
	v_mov_b32_e32 v176, 0                                      // 000000005388: 7F600280
	s_mov_b64 exec, s[86:87]                                   // 00000000538C: BEFE0156
	buffer_load_dword v176, v248, s[16:19], 0 idxen            // 000000005390: E0502000 8004B0F8
	s_mov_b64 exec, s[84:85]                                   // 000000005398: BEFE0154
	v_mov_b32_e32 v177, 0                                      // 00000000539C: 7F620280
	s_mov_b64 exec, s[86:87]                                   // 0000000053A0: BEFE0156
	buffer_load_dword v177, v249, s[16:19], 0 idxen            // 0000000053A4: E0502000 8004B1F9
	s_mov_b64 exec, s[84:85]                                   // 0000000053AC: BEFE0154
	v_mov_b32_e32 v178, 0                                      // 0000000053B0: 7F640280
	s_mov_b64 exec, s[86:87]                                   // 0000000053B4: BEFE0156
	buffer_load_dword v178, v250, s[16:19], 0 idxen            // 0000000053B8: E0502000 8004B2FA
	s_mov_b64 exec, s[84:85]                                   // 0000000053C0: BEFE0154
	v_mov_b32_e32 v179, 0                                      // 0000000053C4: 7F660280
	s_mov_b64 exec, s[86:87]                                   // 0000000053C8: BEFE0156
	buffer_load_dword v179, v251, s[16:19], 0 idxen            // 0000000053CC: E0502000 8004B3FB
	s_mov_b64 exec, s[84:85]                                   // 0000000053D4: BEFE0154
	s_mul_i32 s60, 4, s7                                       // 0000000053D8: 923C0784
	s_cmp_lt_i32 1, s73                                        // 0000000053DC: BF044981
	s_cselect_b32 s60, s60, 0                                  // 0000000053E0: 853C803C
	v_add_u32_e32 v248, s60, v248                              // 0000000053E4: 69F1F03C
	v_add_u32_e32 v249, s60, v249                              // 0000000053E8: 69F3F23C
	v_add_u32_e32 v250, s60, v250                              // 0000000053EC: 69F5F43C
	v_add_u32_e32 v251, s60, v251                              // 0000000053F0: 69F7F63C
	v_mov_b32_e32 v180, 0                                      // 0000000053F4: 7F680280
	s_mov_b64 exec, s[86:87]                                   // 0000000053F8: BEFE0156
	buffer_load_dword v180, v248, s[16:19], 0 idxen            // 0000000053FC: E0502000 8004B4F8
	s_mov_b64 exec, s[84:85]                                   // 000000005404: BEFE0154
	v_mov_b32_e32 v181, 0                                      // 000000005408: 7F6A0280
	s_mov_b64 exec, s[86:87]                                   // 00000000540C: BEFE0156
	buffer_load_dword v181, v249, s[16:19], 0 idxen            // 000000005410: E0502000 8004B5F9
	s_mov_b64 exec, s[84:85]                                   // 000000005418: BEFE0154
	v_mov_b32_e32 v182, 0                                      // 00000000541C: 7F6C0280
	s_mov_b64 exec, s[86:87]                                   // 000000005420: BEFE0156
	buffer_load_dword v182, v250, s[16:19], 0 idxen            // 000000005424: E0502000 8004B6FA
	s_mov_b64 exec, s[84:85]                                   // 00000000542C: BEFE0154
	v_mov_b32_e32 v183, 0                                      // 000000005430: 7F6E0280
	s_mov_b64 exec, s[86:87]                                   // 000000005434: BEFE0156
	buffer_load_dword v183, v251, s[16:19], 0 idxen            // 000000005438: E0502000 8004B7FB
	s_mov_b64 exec, s[84:85]                                   // 000000005440: BEFE0154
	s_mul_i32 s60, 4, s7                                       // 000000005444: 923C0784
	s_cmp_lt_i32 2, s73                                        // 000000005448: BF044982
	s_cselect_b32 s60, s60, 0                                  // 00000000544C: 853C803C
	v_add_u32_e32 v248, s60, v248                              // 000000005450: 69F1F03C
	v_add_u32_e32 v249, s60, v249                              // 000000005454: 69F3F23C
	v_add_u32_e32 v250, s60, v250                              // 000000005458: 69F5F43C
	v_add_u32_e32 v251, s60, v251                              // 00000000545C: 69F7F63C
	s_waitcnt lgkmcnt(0)                                       // 000000005460: BF8CC07F
	s_barrier                                                  // 000000005464: BF8A0000
	ds_read_b128 a[64:67], v23 offset:17408                    // 000000005468: DBFE4400 40000017
	ds_read_b128 a[68:71], v23 offset:17664                    // 000000005470: DBFE4500 44000017
	ds_read_b128 a[72:75], v23 offset:26112                    // 000000005478: DBFE6600 48000017
	ds_read_b128 a[76:79], v23 offset:26368                    // 000000005480: DBFE6700 4C000017
	ds_read_b128 a[16:19], v22                                 // 000000005488: DBFE0000 10000016
	ds_read_b128 a[20:23], v22 offset:512                      // 000000005490: DBFE0200 14000016
	ds_read_b128 a[24:27], v22 offset:2176                     // 000000005498: DBFE0880 18000016
	ds_read_b128 a[28:31], v22 offset:2688                     // 0000000054A0: DBFE0A80 1C000016
	s_waitcnt vmcnt(32) lgkmcnt(0)                             // 0000000054A8: BF8C8070
	s_barrier                                                  // 0000000054AC: BF8A0000
	s_cmp_lt_i32 2, s73                                        // 0000000054B0: BF044982
	s_cbranch_scc1 label_05BE                                  // 0000000054B4: BF850010
	v_mov_b32_e32 v184, 0                                      // 0000000054B8: 7F700280
	v_mov_b32_e32 v185, 0                                      // 0000000054BC: 7F720280
	v_mov_b32_e32 v186, 0                                      // 0000000054C0: 7F740280
	v_mov_b32_e32 v187, 0                                      // 0000000054C4: 7F760280
	v_mov_b32_e32 v188, 0                                      // 0000000054C8: 7F780280
	v_mov_b32_e32 v189, 0                                      // 0000000054CC: 7F7A0280
	v_mov_b32_e32 v190, 0                                      // 0000000054D0: 7F7C0280
	v_mov_b32_e32 v191, 0                                      // 0000000054D4: 7F7E0280
	v_mov_b32_e32 v192, 0                                      // 0000000054D8: 7F800280
	v_mov_b32_e32 v193, 0                                      // 0000000054DC: 7F820280
	v_mov_b32_e32 v194, 0                                      // 0000000054E0: 7F840280
	v_mov_b32_e32 v195, 0                                      // 0000000054E4: 7F860280
	v_mov_b32_e32 v196, 0                                      // 0000000054E8: 7F880280
	v_mov_b32_e32 v197, 0                                      // 0000000054EC: 7F8A0280
	v_mov_b32_e32 v198, 0                                      // 0000000054F0: 7F8C0280
	v_mov_b32_e32 v199, 0                                      // 0000000054F4: 7F8E0280

00000000000054f8 <label_05BE>:
	v_perm_b32 v200, v185, v184, s63                           // 0000000054F8: D1ED00C8 00FF71B9
	v_perm_b32 v201, v185, v184, s64                           // 000000005500: D1ED00C9 010371B9
	v_perm_b32 v202, v187, v186, s63                           // 000000005508: D1ED00CA 00FF75BB
	v_perm_b32 v203, v187, v186, s64                           // 000000005510: D1ED00CB 010375BB
	v_perm_b32 v204, v189, v188, s63                           // 000000005518: D1ED00CC 00FF79BD
	v_perm_b32 v205, v189, v188, s64                           // 000000005520: D1ED00CD 010379BD
	v_perm_b32 v206, v191, v190, s63                           // 000000005528: D1ED00CE 00FF7DBF
	v_perm_b32 v207, v191, v190, s64                           // 000000005530: D1ED00CF 01037DBF
	v_perm_b32 v208, v193, v192, s63                           // 000000005538: D1ED00D0 00FF81C1
	v_perm_b32 v209, v193, v192, s64                           // 000000005540: D1ED00D1 010381C1
	v_perm_b32 v210, v195, v194, s63                           // 000000005548: D1ED00D2 00FF85C3
	v_perm_b32 v211, v195, v194, s64                           // 000000005550: D1ED00D3 010385C3
	v_perm_b32 v212, v197, v196, s63                           // 000000005558: D1ED00D4 00FF89C5
	v_perm_b32 v213, v197, v196, s64                           // 000000005560: D1ED00D5 010389C5
	v_perm_b32 v214, v199, v198, s63                           // 000000005568: D1ED00D6 00FF8DC7
	v_perm_b32 v215, v199, v198, s64                           // 000000005570: D1ED00D7 01038DC7
	ds_write_b32 v13, v200 offset:17408                        // 000000005578: D81A4400 0000C80D
	ds_write_b32 v13, v201 offset:18464                        // 000000005580: D81A4820 0000C90D
	ds_write_b32 v13, v202 offset:17536                        // 000000005588: D81A4480 0000CA0D
	ds_write_b32 v13, v203 offset:18592                        // 000000005590: D81A48A0 0000CB0D
	ds_write_b32 v13, v204 offset:21760                        // 000000005598: D81A5500 0000CC0D
	ds_write_b32 v13, v205 offset:22816                        // 0000000055A0: D81A5920 0000CD0D
	ds_write_b32 v13, v206 offset:21888                        // 0000000055A8: D81A5580 0000CE0D
	ds_write_b32 v13, v207 offset:22944                        // 0000000055B0: D81A59A0 0000CF0D
	ds_write_b32 v13, v208 offset:26112                        // 0000000055B8: D81A6600 0000D00D
	ds_write_b32 v13, v209 offset:27168                        // 0000000055C0: D81A6A20 0000D10D
	ds_write_b32 v13, v210 offset:26240                        // 0000000055C8: D81A6680 0000D20D
	ds_write_b32 v13, v211 offset:27296                        // 0000000055D0: D81A6AA0 0000D30D
	ds_write_b32 v13, v212 offset:30464                        // 0000000055D8: D81A7700 0000D40D
	ds_write_b32 v13, v213 offset:31520                        // 0000000055E0: D81A7B20 0000D50D
	ds_write_b32 v13, v214 offset:30592                        // 0000000055E8: D81A7780 0000D60D
	ds_write_b32 v13, v215 offset:31648                        // 0000000055F0: D81A7BA0 0000D70D
	ds_write_b32 v11, v184                                     // 0000000055F8: D81A0000 0000B80B
	ds_write_b32 v11, v185 offset:1056                         // 000000005600: D81A0420 0000B90B
	ds_write_b32 v11, v186 offset:128                          // 000000005608: D81A0080 0000BA0B
	ds_write_b32 v11, v187 offset:1184                         // 000000005610: D81A04A0 0000BB0B
	ds_write_b32 v11, v188 offset:4352                         // 000000005618: D81A1100 0000BC0B
	ds_write_b32 v11, v189 offset:5408                         // 000000005620: D81A1520 0000BD0B
	ds_write_b32 v11, v190 offset:4480                         // 000000005628: D81A1180 0000BE0B
	ds_write_b32 v11, v191 offset:5536                         // 000000005630: D81A15A0 0000BF0B
	ds_write_b32 v11, v192 offset:8704                         // 000000005638: D81A2200 0000C00B
	ds_write_b32 v11, v193 offset:9760                         // 000000005640: D81A2620 0000C10B
	ds_write_b32 v11, v194 offset:8832                         // 000000005648: D81A2280 0000C20B
	ds_write_b32 v11, v195 offset:9888                         // 000000005650: D81A26A0 0000C30B
	ds_write_b32 v11, v196 offset:13056                        // 000000005658: D81A3300 0000C40B
	ds_write_b32 v11, v197 offset:14112                        // 000000005660: D81A3720 0000C50B
	ds_write_b32 v11, v198 offset:13184                        // 000000005668: D81A3380 0000C60B
	ds_write_b32 v11, v199 offset:14240                        // 000000005670: D81A37A0 0000C70B
	v_mov_b32_e32 v184, 0                                      // 000000005678: 7F700280
	s_mov_b64 exec, s[86:87]                                   // 00000000567C: BEFE0156
	buffer_load_dword v184, v248, s[16:19], 0 idxen            // 000000005680: E0502000 8004B8F8
	s_mov_b64 exec, s[84:85]                                   // 000000005688: BEFE0154
	v_mov_b32_e32 v185, 0                                      // 00000000568C: 7F720280
	s_mov_b64 exec, s[86:87]                                   // 000000005690: BEFE0156
	buffer_load_dword v185, v249, s[16:19], 0 idxen            // 000000005694: E0502000 8004B9F9
	s_mov_b64 exec, s[84:85]                                   // 00000000569C: BEFE0154
	v_mov_b32_e32 v186, 0                                      // 0000000056A0: 7F740280
	s_mov_b64 exec, s[86:87]                                   // 0000000056A4: BEFE0156
	buffer_load_dword v186, v250, s[16:19], 0 idxen            // 0000000056A8: E0502000 8004BAFA
	s_mov_b64 exec, s[84:85]                                   // 0000000056B0: BEFE0154
	v_mov_b32_e32 v187, 0                                      // 0000000056B4: 7F760280
	s_mov_b64 exec, s[86:87]                                   // 0000000056B8: BEFE0156
	buffer_load_dword v187, v251, s[16:19], 0 idxen            // 0000000056BC: E0502000 8004BBFB
	s_mov_b64 exec, s[84:85]                                   // 0000000056C4: BEFE0154
	s_mul_i32 s60, 4, s7                                       // 0000000056C8: 923C0784
	s_cmp_lt_i32 2, s73                                        // 0000000056CC: BF044982
	s_cselect_b32 s60, s60, 0                                  // 0000000056D0: 853C803C
	v_add_u32_e32 v248, s60, v248                              // 0000000056D4: 69F1F03C
	v_add_u32_e32 v249, s60, v249                              // 0000000056D8: 69F3F23C
	v_add_u32_e32 v250, s60, v250                              // 0000000056DC: 69F5F43C
	v_add_u32_e32 v251, s60, v251                              // 0000000056E0: 69F7F63C
	v_mov_b32_e32 v188, 0                                      // 0000000056E4: 7F780280
	s_mov_b64 exec, s[86:87]                                   // 0000000056E8: BEFE0156
	buffer_load_dword v188, v248, s[16:19], 0 idxen            // 0000000056EC: E0502000 8004BCF8
	s_mov_b64 exec, s[84:85]                                   // 0000000056F4: BEFE0154
	v_mov_b32_e32 v189, 0                                      // 0000000056F8: 7F7A0280
	s_mov_b64 exec, s[86:87]                                   // 0000000056FC: BEFE0156
	buffer_load_dword v189, v249, s[16:19], 0 idxen            // 000000005700: E0502000 8004BDF9
	s_mov_b64 exec, s[84:85]                                   // 000000005708: BEFE0154
	v_mov_b32_e32 v190, 0                                      // 00000000570C: 7F7C0280
	s_mov_b64 exec, s[86:87]                                   // 000000005710: BEFE0156
	buffer_load_dword v190, v250, s[16:19], 0 idxen            // 000000005714: E0502000 8004BEFA
	s_mov_b64 exec, s[84:85]                                   // 00000000571C: BEFE0154
	v_mov_b32_e32 v191, 0                                      // 000000005720: 7F7E0280
	s_mov_b64 exec, s[86:87]                                   // 000000005724: BEFE0156
	buffer_load_dword v191, v251, s[16:19], 0 idxen            // 000000005728: E0502000 8004BFFB
	s_mov_b64 exec, s[84:85]                                   // 000000005730: BEFE0154
	s_mul_i32 s60, 4, s7                                       // 000000005734: 923C0784
	s_cmp_lt_i32 2, s73                                        // 000000005738: BF044982
	s_cselect_b32 s60, s60, 0                                  // 00000000573C: 853C803C
	v_add_u32_e32 v248, s60, v248                              // 000000005740: 69F1F03C
	v_add_u32_e32 v249, s60, v249                              // 000000005744: 69F3F23C
	v_add_u32_e32 v250, s60, v250                              // 000000005748: 69F5F43C
	v_add_u32_e32 v251, s60, v251                              // 00000000574C: 69F7F63C
	v_mov_b32_e32 v192, 0                                      // 000000005750: 7F800280
	s_mov_b64 exec, s[86:87]                                   // 000000005754: BEFE0156
	buffer_load_dword v192, v248, s[16:19], 0 idxen            // 000000005758: E0502000 8004C0F8
	s_mov_b64 exec, s[84:85]                                   // 000000005760: BEFE0154
	v_mov_b32_e32 v193, 0                                      // 000000005764: 7F820280
	s_mov_b64 exec, s[86:87]                                   // 000000005768: BEFE0156
	buffer_load_dword v193, v249, s[16:19], 0 idxen            // 00000000576C: E0502000 8004C1F9
	s_mov_b64 exec, s[84:85]                                   // 000000005774: BEFE0154
	v_mov_b32_e32 v194, 0                                      // 000000005778: 7F840280
	s_mov_b64 exec, s[86:87]                                   // 00000000577C: BEFE0156
	buffer_load_dword v194, v250, s[16:19], 0 idxen            // 000000005780: E0502000 8004C2FA
	s_mov_b64 exec, s[84:85]                                   // 000000005788: BEFE0154
	v_mov_b32_e32 v195, 0                                      // 00000000578C: 7F860280
	s_mov_b64 exec, s[86:87]                                   // 000000005790: BEFE0156
	buffer_load_dword v195, v251, s[16:19], 0 idxen            // 000000005794: E0502000 8004C3FB
	s_mov_b64 exec, s[84:85]                                   // 00000000579C: BEFE0154
	s_mul_i32 s60, 4, s7                                       // 0000000057A0: 923C0784
	s_cmp_lt_i32 2, s73                                        // 0000000057A4: BF044982
	s_cselect_b32 s60, s60, 0                                  // 0000000057A8: 853C803C
	v_add_u32_e32 v248, s60, v248                              // 0000000057AC: 69F1F03C
	v_add_u32_e32 v249, s60, v249                              // 0000000057B0: 69F3F23C
	v_add_u32_e32 v250, s60, v250                              // 0000000057B4: 69F5F43C
	v_add_u32_e32 v251, s60, v251                              // 0000000057B8: 69F7F63C
	v_mov_b32_e32 v196, 0                                      // 0000000057BC: 7F880280
	s_mov_b64 exec, s[86:87]                                   // 0000000057C0: BEFE0156
	buffer_load_dword v196, v248, s[16:19], 0 idxen            // 0000000057C4: E0502000 8004C4F8
	s_mov_b64 exec, s[84:85]                                   // 0000000057CC: BEFE0154
	v_mov_b32_e32 v197, 0                                      // 0000000057D0: 7F8A0280
	s_mov_b64 exec, s[86:87]                                   // 0000000057D4: BEFE0156
	buffer_load_dword v197, v249, s[16:19], 0 idxen            // 0000000057D8: E0502000 8004C5F9
	s_mov_b64 exec, s[84:85]                                   // 0000000057E0: BEFE0154
	v_mov_b32_e32 v198, 0                                      // 0000000057E4: 7F8C0280
	s_mov_b64 exec, s[86:87]                                   // 0000000057E8: BEFE0156
	buffer_load_dword v198, v250, s[16:19], 0 idxen            // 0000000057EC: E0502000 8004C6FA
	s_mov_b64 exec, s[84:85]                                   // 0000000057F4: BEFE0154
	v_mov_b32_e32 v199, 0                                      // 0000000057F8: 7F8E0280
	s_mov_b64 exec, s[86:87]                                   // 0000000057FC: BEFE0156
	buffer_load_dword v199, v251, s[16:19], 0 idxen            // 000000005800: E0502000 8004C7FB
	s_mov_b64 exec, s[84:85]                                   // 000000005808: BEFE0154
	s_mul_i32 s60, 4, s7                                       // 00000000580C: 923C0784
	s_cmp_lt_i32 3, s73                                        // 000000005810: BF044983
	s_cselect_b32 s60, s60, 0                                  // 000000005814: 853C803C
	v_add_u32_e32 v248, s60, v248                              // 000000005818: 69F1F03C
	v_add_u32_e32 v249, s60, v249                              // 00000000581C: 69F3F23C
	v_add_u32_e32 v250, s60, v250                              // 000000005820: 69F5F43C
	v_add_u32_e32 v251, s60, v251                              // 000000005824: 69F7F63C
	s_waitcnt lgkmcnt(0)                                       // 000000005828: BF8CC07F
	s_barrier                                                  // 00000000582C: BF8A0000
	ds_read_b128 a[80:83], v23 offset:17408                    // 000000005830: DBFE4400 50000017
	ds_read_b128 a[84:87], v23 offset:17664                    // 000000005838: DBFE4500 54000017
	ds_read_b128 a[88:91], v23 offset:26112                    // 000000005840: DBFE6600 58000017
	ds_read_b128 a[92:95], v23 offset:26368                    // 000000005848: DBFE6700 5C000017
	ds_read_b128 a[32:35], v22                                 // 000000005850: DBFE0000 20000016
	ds_read_b128 a[36:39], v22 offset:512                      // 000000005858: DBFE0200 24000016
	ds_read_b128 a[40:43], v22 offset:2176                     // 000000005860: DBFE0880 28000016
	ds_read_b128 a[44:47], v22 offset:2688                     // 000000005868: DBFE0A80 2C000016
	s_waitcnt vmcnt(32) lgkmcnt(0)                             // 000000005870: BF8C8070
	s_barrier                                                  // 000000005874: BF8A0000
	s_cmp_lt_i32 0, s73                                        // 000000005878: BF044980
	s_cbranch_scc1 label_06B0                                  // 00000000587C: BF850010
	v_mov_b32_e32 v152, 0                                      // 000000005880: 7F300280
	v_mov_b32_e32 v153, 0                                      // 000000005884: 7F320280
	v_mov_b32_e32 v154, 0                                      // 000000005888: 7F340280
	v_mov_b32_e32 v155, 0                                      // 00000000588C: 7F360280
	v_mov_b32_e32 v156, 0                                      // 000000005890: 7F380280
	v_mov_b32_e32 v157, 0                                      // 000000005894: 7F3A0280
	v_mov_b32_e32 v158, 0                                      // 000000005898: 7F3C0280
	v_mov_b32_e32 v159, 0                                      // 00000000589C: 7F3E0280
	v_mov_b32_e32 v160, 0                                      // 0000000058A0: 7F400280
	v_mov_b32_e32 v161, 0                                      // 0000000058A4: 7F420280
	v_mov_b32_e32 v162, 0                                      // 0000000058A8: 7F440280
	v_mov_b32_e32 v163, 0                                      // 0000000058AC: 7F460280
	v_mov_b32_e32 v164, 0                                      // 0000000058B0: 7F480280
	v_mov_b32_e32 v165, 0                                      // 0000000058B4: 7F4A0280
	v_mov_b32_e32 v166, 0                                      // 0000000058B8: 7F4C0280
	v_mov_b32_e32 v167, 0                                      // 0000000058BC: 7F4E0280

00000000000058c0 <label_06B0>:
	ds_write_b32 v11, v152                                     // 0000000058C0: D81A0000 0000980B
	ds_write_b32 v11, v153 offset:1056                         // 0000000058C8: D81A0420 0000990B
	ds_write_b32 v11, v154 offset:128                          // 0000000058D0: D81A0080 00009A0B
	ds_write_b32 v11, v155 offset:1184                         // 0000000058D8: D81A04A0 00009B0B
	ds_write_b32 v11, v156 offset:4352                         // 0000000058E0: D81A1100 00009C0B
	ds_write_b32 v11, v157 offset:5408                         // 0000000058E8: D81A1520 00009D0B
	ds_write_b32 v11, v158 offset:4480                         // 0000000058F0: D81A1180 00009E0B
	ds_write_b32 v11, v159 offset:5536                         // 0000000058F8: D81A15A0 00009F0B
	ds_write_b32 v11, v160 offset:8704                         // 000000005900: D81A2200 0000A00B
	ds_write_b32 v11, v161 offset:9760                         // 000000005908: D81A2620 0000A10B
	ds_write_b32 v11, v162 offset:8832                         // 000000005910: D81A2280 0000A20B
	ds_write_b32 v11, v163 offset:9888                         // 000000005918: D81A26A0 0000A30B
	ds_write_b32 v11, v164 offset:13056                        // 000000005920: D81A3300 0000A40B
	ds_write_b32 v11, v165 offset:14112                        // 000000005928: D81A3720 0000A50B
	ds_write_b32 v11, v166 offset:13184                        // 000000005930: D81A3380 0000A60B
	ds_write_b32 v11, v167 offset:14240                        // 000000005938: D81A37A0 0000A70B
	s_mov_b32 s71, s5                                          // 000000005940: BEC70005
	v_lshrrev_b32_e32 v28, 4, v0                               // 000000005944: 20380084
	v_and_b32_e32 v29, 1, v28                                  // 000000005948: 263A3881
	v_lshlrev_b32_e32 v29, 1, v29                              // 00000000594C: 243A3A81
	v_mul_i32_i24_e32 v29, s71, v29                            // 000000005950: 0C3A3A47
	v_and_b32_e32 v30, 2, v28                                  // 000000005954: 263C3882
	v_lshlrev_b32_e32 v30, 5, v30                              // 000000005958: 243C3C85
	v_add_u32_e32 v29, v30, v29                                // 00000000595C: 683A3B1E
	v_and_b32_e32 v28, 15, v0                                  // 000000005960: 2638008F
	v_lshlrev_b32_e32 v28, 2, v28                              // 000000005964: 24383882
	v_add_u32_e32 v1, v28, v29                                 // 000000005968: 68023B1C
	s_and_b32 s60, 1, s46                                      // 00000000596C: 863C2E81
	s_mul_i32 s60, s60, s71                                    // 000000005970: 923C473C
	s_mul_i32 s60, s60, 8                                      // 000000005974: 923C883C
	s_lshr_b32 s61, s46, 1                                     // 000000005978: 8F3D812E
	s_mul_i32 s61, s61, 0x80                                   // 00000000597C: 923DFF3D 00000080
	s_add_u32 s60, s60, s61                                    // 000000005984: 803C3D3C
	v_add_u32_e32 v1, s60, v1                                  // 000000005988: 6802023C
	v_add_u32_e32 v2, s71, v1                                  // 00000000598C: 68040247
	s_mul_i32 s60, 4, s71                                      // 000000005990: 923C4784
	v_add_u32_e32 v3, s60, v1                                  // 000000005994: 6806023C
	v_add_u32_e32 v4, s60, v2                                  // 000000005998: 6808043C
	s_mov_b32 s71, s51                                         // 00000000599C: BEC70033
	v_lshrrev_b32_e32 v28, 4, v0                               // 0000000059A0: 20380084
	v_and_b32_e32 v29, 1, v28                                  // 0000000059A4: 263A3881
	v_lshlrev_b32_e32 v29, 1, v29                              // 0000000059A8: 243A3A81
	v_mul_i32_i24_e32 v29, s71, v29                            // 0000000059AC: 0C3A3A47
	v_and_b32_e32 v30, 2, v28                                  // 0000000059B0: 263C3882
	v_lshlrev_b32_e32 v30, 5, v30                              // 0000000059B4: 243C3C85
	v_add_u32_e32 v29, v30, v29                                // 0000000059B8: 683A3B1E
	v_and_b32_e32 v28, 15, v0                                  // 0000000059BC: 2638008F
	v_lshlrev_b32_e32 v28, 2, v28                              // 0000000059C0: 24383882
	v_add_u32_e32 v248, v28, v29                               // 0000000059C4: 69F03B1C
	s_and_b32 s60, 1, s46                                      // 0000000059C8: 863C2E81
	s_mul_i32 s60, s60, s71                                    // 0000000059CC: 923C473C
	s_mul_i32 s60, s60, 8                                      // 0000000059D0: 923C883C
	s_lshr_b32 s61, s46, 1                                     // 0000000059D4: 8F3D812E
	s_mul_i32 s61, s61, 0x80                                   // 0000000059D8: 923DFF3D 00000080
	s_add_u32 s60, s60, s61                                    // 0000000059E0: 803C3D3C
	v_add_u32_e32 v248, s60, v248                              // 0000000059E4: 69F1F03C
	v_add_u32_e32 v249, s71, v248                              // 0000000059E8: 69F3F047
	s_mul_i32 s60, 4, s71                                      // 0000000059EC: 923C4784
	v_add_u32_e32 v250, s60, v248                              // 0000000059F0: 69F5F03C
	v_add_u32_e32 v251, s60, v249                              // 0000000059F4: 69F7F23C
	v_lshrrev_b32_e32 v1, 2, v1                                // 0000000059F8: 20020282
	v_lshrrev_b32_e32 v2, 2, v2                                // 0000000059FC: 20040482
	v_lshrrev_b32_e32 v3, 2, v3                                // 000000005A00: 20060682
	v_lshrrev_b32_e32 v4, 2, v4                                // 000000005A04: 20080882
	v_lshrrev_b32_e32 v248, 2, v248                            // 000000005A08: 21F1F082
	v_lshrrev_b32_e32 v249, 2, v249                            // 000000005A0C: 21F3F282
	v_lshrrev_b32_e32 v250, 2, v250                            // 000000005A10: 21F5F482
	v_lshrrev_b32_e32 v251, 2, v251                            // 000000005A14: 21F7F682
	v_mov_b32_e32 v32, 0                                       // 000000005A18: 7E400280
	s_mov_b64 exec, s[86:87]                                   // 000000005A1C: BEFE0156
	buffer_load_dword v32, v1, s[8:11], 0 idxen                // 000000005A20: E0502000 80022001
	s_mov_b64 exec, s[84:85]                                   // 000000005A28: BEFE0154
	v_mov_b32_e32 v33, 0                                       // 000000005A2C: 7E420280
	s_mov_b64 exec, s[86:87]                                   // 000000005A30: BEFE0156
	buffer_load_dword v33, v2, s[8:11], 0 idxen                // 000000005A34: E0502000 80022102
	s_mov_b64 exec, s[84:85]                                   // 000000005A3C: BEFE0154
	v_mov_b32_e32 v34, 0                                       // 000000005A40: 7E440280
	s_mov_b64 exec, s[86:87]                                   // 000000005A44: BEFE0156
	buffer_load_dword v34, v3, s[8:11], 0 idxen                // 000000005A48: E0502000 80022203
	s_mov_b64 exec, s[84:85]                                   // 000000005A50: BEFE0154
	v_mov_b32_e32 v35, 0                                       // 000000005A54: 7E460280
	s_mov_b64 exec, s[86:87]                                   // 000000005A58: BEFE0156
	buffer_load_dword v35, v4, s[8:11], 0 idxen                // 000000005A5C: E0502000 80022304
	s_mov_b64 exec, s[84:85]                                   // 000000005A64: BEFE0154
	v_mov_b32_e32 v40, 0                                       // 000000005A68: 7E500280
	s_mov_b64 exec, s[86:87]                                   // 000000005A6C: BEFE0156
	buffer_load_dword v40, v248, s[20:23], 0 idxen             // 000000005A70: E0502000 800528F8
	s_mov_b64 exec, s[84:85]                                   // 000000005A78: BEFE0154
	v_mov_b32_e32 v41, 0                                       // 000000005A7C: 7E520280
	s_mov_b64 exec, s[86:87]                                   // 000000005A80: BEFE0156
	buffer_load_dword v41, v249, s[20:23], 0 idxen             // 000000005A84: E0502000 800529F9
	s_mov_b64 exec, s[84:85]                                   // 000000005A8C: BEFE0154
	v_mov_b32_e32 v42, 0                                       // 000000005A90: 7E540280
	s_mov_b64 exec, s[86:87]                                   // 000000005A94: BEFE0156
	buffer_load_dword v42, v250, s[20:23], 0 idxen             // 000000005A98: E0502000 80052AFA
	s_mov_b64 exec, s[84:85]                                   // 000000005AA0: BEFE0154
	v_mov_b32_e32 v43, 0                                       // 000000005AA4: 7E560280
	s_mov_b64 exec, s[86:87]                                   // 000000005AA8: BEFE0156
	buffer_load_dword v43, v251, s[20:23], 0 idxen             // 000000005AAC: E0502000 80052BFB
	s_mov_b64 exec, s[84:85]                                   // 000000005AB4: BEFE0154
	s_waitcnt lgkmcnt(0)                                       // 000000005AB8: BF8CC07F
	s_barrier                                                  // 000000005ABC: BF8A0000
	ds_read_b128 a[96:99], v22                                 // 000000005AC0: DBFE0000 60000016
	ds_read_b128 a[100:103], v22 offset:512                    // 000000005AC8: DBFE0200 64000016
	ds_read_b128 a[104:107], v22 offset:2176                   // 000000005AD0: DBFE0880 68000016
	ds_read_b128 a[108:111], v22 offset:2688                   // 000000005AD8: DBFE0A80 6C000016
	v_add_u32_e32 v1, s68, v1                                  // 000000005AE0: 68020244
	v_add_u32_e32 v2, s68, v2                                  // 000000005AE4: 68040444
	v_add_u32_e32 v3, s68, v3                                  // 000000005AE8: 68060644
	v_add_u32_e32 v4, s68, v4                                  // 000000005AEC: 68080844
	v_add_u32_e32 v248, s95, v248                              // 000000005AF0: 69F1F05F
	v_add_u32_e32 v249, s95, v249                              // 000000005AF4: 69F3F25F
	v_add_u32_e32 v250, s95, v250                              // 000000005AF8: 69F5F45F
	v_add_u32_e32 v251, s95, v251                              // 000000005AFC: 69F7F65F
	s_waitcnt vmcnt(24) lgkmcnt(0)                             // 000000005B00: BF8C4078
	s_barrier                                                  // 000000005B04: BF8A0000
	s_cmp_lt_i32 1, s73                                        // 000000005B08: BF044981
	s_cbranch_scc1 label_0754                                  // 000000005B0C: BF850010
	v_mov_b32_e32 v168, 0                                      // 000000005B10: 7F500280
	v_mov_b32_e32 v169, 0                                      // 000000005B14: 7F520280
	v_mov_b32_e32 v170, 0                                      // 000000005B18: 7F540280
	v_mov_b32_e32 v171, 0                                      // 000000005B1C: 7F560280
	v_mov_b32_e32 v172, 0                                      // 000000005B20: 7F580280
	v_mov_b32_e32 v173, 0                                      // 000000005B24: 7F5A0280
	v_mov_b32_e32 v174, 0                                      // 000000005B28: 7F5C0280
	v_mov_b32_e32 v175, 0                                      // 000000005B2C: 7F5E0280
	v_mov_b32_e32 v176, 0                                      // 000000005B30: 7F600280
	v_mov_b32_e32 v177, 0                                      // 000000005B34: 7F620280
	v_mov_b32_e32 v178, 0                                      // 000000005B38: 7F640280
	v_mov_b32_e32 v179, 0                                      // 000000005B3C: 7F660280
	v_mov_b32_e32 v180, 0                                      // 000000005B40: 7F680280
	v_mov_b32_e32 v181, 0                                      // 000000005B44: 7F6A0280
	v_mov_b32_e32 v182, 0                                      // 000000005B48: 7F6C0280
	v_mov_b32_e32 v183, 0                                      // 000000005B4C: 7F6E0280

0000000000005b50 <label_0754>:
	ds_write_b32 v11, v168                                     // 000000005B50: D81A0000 0000A80B
	ds_write_b32 v11, v169 offset:1056                         // 000000005B58: D81A0420 0000A90B
	ds_write_b32 v11, v170 offset:128                          // 000000005B60: D81A0080 0000AA0B
	ds_write_b32 v11, v171 offset:1184                         // 000000005B68: D81A04A0 0000AB0B
	ds_write_b32 v11, v172 offset:4352                         // 000000005B70: D81A1100 0000AC0B
	ds_write_b32 v11, v173 offset:5408                         // 000000005B78: D81A1520 0000AD0B
	ds_write_b32 v11, v174 offset:4480                         // 000000005B80: D81A1180 0000AE0B
	ds_write_b32 v11, v175 offset:5536                         // 000000005B88: D81A15A0 0000AF0B
	ds_write_b32 v11, v176 offset:8704                         // 000000005B90: D81A2200 0000B00B
	ds_write_b32 v11, v177 offset:9760                         // 000000005B98: D81A2620 0000B10B
	ds_write_b32 v11, v178 offset:8832                         // 000000005BA0: D81A2280 0000B20B
	ds_write_b32 v11, v179 offset:9888                         // 000000005BA8: D81A26A0 0000B30B
	ds_write_b32 v11, v180 offset:13056                        // 000000005BB0: D81A3300 0000B40B
	ds_write_b32 v11, v181 offset:14112                        // 000000005BB8: D81A3720 0000B50B
	ds_write_b32 v11, v182 offset:13184                        // 000000005BC0: D81A3380 0000B60B
	ds_write_b32 v11, v183 offset:14240                        // 000000005BC8: D81A37A0 0000B70B
	v_mov_b32_e32 v36, 0                                       // 000000005BD0: 7E480280
	s_mov_b64 exec, s[86:87]                                   // 000000005BD4: BEFE0156
	buffer_load_dword v36, v1, s[8:11], 0 idxen                // 000000005BD8: E0502000 80022401
	s_mov_b64 exec, s[84:85]                                   // 000000005BE0: BEFE0154
	v_mov_b32_e32 v37, 0                                       // 000000005BE4: 7E4A0280
	s_mov_b64 exec, s[86:87]                                   // 000000005BE8: BEFE0156
	buffer_load_dword v37, v2, s[8:11], 0 idxen                // 000000005BEC: E0502000 80022502
	s_mov_b64 exec, s[84:85]                                   // 000000005BF4: BEFE0154
	v_mov_b32_e32 v38, 0                                       // 000000005BF8: 7E4C0280
	s_mov_b64 exec, s[86:87]                                   // 000000005BFC: BEFE0156
	buffer_load_dword v38, v3, s[8:11], 0 idxen                // 000000005C00: E0502000 80022603
	s_mov_b64 exec, s[84:85]                                   // 000000005C08: BEFE0154
	v_mov_b32_e32 v39, 0                                       // 000000005C0C: 7E4E0280
	s_mov_b64 exec, s[86:87]                                   // 000000005C10: BEFE0156
	buffer_load_dword v39, v4, s[8:11], 0 idxen                // 000000005C14: E0502000 80022704
	s_mov_b64 exec, s[84:85]                                   // 000000005C1C: BEFE0154
	v_mov_b32_e32 v44, 0                                       // 000000005C20: 7E580280
	s_mov_b64 exec, s[86:87]                                   // 000000005C24: BEFE0156
	buffer_load_dword v44, v248, s[20:23], 0 idxen             // 000000005C28: E0502000 80052CF8
	s_mov_b64 exec, s[84:85]                                   // 000000005C30: BEFE0154
	v_mov_b32_e32 v45, 0                                       // 000000005C34: 7E5A0280
	s_mov_b64 exec, s[86:87]                                   // 000000005C38: BEFE0156
	buffer_load_dword v45, v249, s[20:23], 0 idxen             // 000000005C3C: E0502000 80052DF9
	s_mov_b64 exec, s[84:85]                                   // 000000005C44: BEFE0154
	v_mov_b32_e32 v46, 0                                       // 000000005C48: 7E5C0280
	s_mov_b64 exec, s[86:87]                                   // 000000005C4C: BEFE0156
	buffer_load_dword v46, v250, s[20:23], 0 idxen             // 000000005C50: E0502000 80052EFA
	s_mov_b64 exec, s[84:85]                                   // 000000005C58: BEFE0154
	v_mov_b32_e32 v47, 0                                       // 000000005C5C: 7E5E0280
	s_mov_b64 exec, s[86:87]                                   // 000000005C60: BEFE0156
	buffer_load_dword v47, v251, s[20:23], 0 idxen             // 000000005C64: E0502000 80052FFB
	s_mov_b64 exec, s[84:85]                                   // 000000005C6C: BEFE0154
	s_waitcnt lgkmcnt(0)                                       // 000000005C70: BF8CC07F
	s_barrier                                                  // 000000005C74: BF8A0000
	ds_read_b128 a[112:115], v22                               // 000000005C78: DBFE0000 70000016
	ds_read_b128 a[116:119], v22 offset:512                    // 000000005C80: DBFE0200 74000016
	ds_read_b128 a[120:123], v22 offset:2176                   // 000000005C88: DBFE0880 78000016
	ds_read_b128 a[124:127], v22 offset:2688                   // 000000005C90: DBFE0A80 7C000016
	v_add_u32_e32 v1, s68, v1                                  // 000000005C98: 68020244
	v_add_u32_e32 v2, s68, v2                                  // 000000005C9C: 68040444
	v_add_u32_e32 v3, s68, v3                                  // 000000005CA0: 68060644
	v_add_u32_e32 v4, s68, v4                                  // 000000005CA4: 68080844
	v_add_u32_e32 v248, s95, v248                              // 000000005CA8: 69F1F05F
	v_add_u32_e32 v249, s95, v249                              // 000000005CAC: 69F3F25F
	v_add_u32_e32 v250, s95, v250                              // 000000005CB0: 69F5F45F
	v_add_u32_e32 v251, s95, v251                              // 000000005CB4: 69F7F65F
	s_waitcnt vmcnt(16) lgkmcnt(0)                             // 000000005CB8: BF8C4070
	s_barrier                                                  // 000000005CBC: BF8A0000
	s_cmp_lt_i32 2, s73                                        // 000000005CC0: BF044982
	s_cbranch_scc1 label_07C2                                  // 000000005CC4: BF850010
	v_mov_b32_e32 v184, 0                                      // 000000005CC8: 7F700280
	v_mov_b32_e32 v185, 0                                      // 000000005CCC: 7F720280
	v_mov_b32_e32 v186, 0                                      // 000000005CD0: 7F740280
	v_mov_b32_e32 v187, 0                                      // 000000005CD4: 7F760280
	v_mov_b32_e32 v188, 0                                      // 000000005CD8: 7F780280
	v_mov_b32_e32 v189, 0                                      // 000000005CDC: 7F7A0280
	v_mov_b32_e32 v190, 0                                      // 000000005CE0: 7F7C0280
	v_mov_b32_e32 v191, 0                                      // 000000005CE4: 7F7E0280
	v_mov_b32_e32 v192, 0                                      // 000000005CE8: 7F800280
	v_mov_b32_e32 v193, 0                                      // 000000005CEC: 7F820280
	v_mov_b32_e32 v194, 0                                      // 000000005CF0: 7F840280
	v_mov_b32_e32 v195, 0                                      // 000000005CF4: 7F860280
	v_mov_b32_e32 v196, 0                                      // 000000005CF8: 7F880280
	v_mov_b32_e32 v197, 0                                      // 000000005CFC: 7F8A0280
	v_mov_b32_e32 v198, 0                                      // 000000005D00: 7F8C0280
	v_mov_b32_e32 v199, 0                                      // 000000005D04: 7F8E0280

0000000000005d08 <label_07C2>:
	ds_write_b32 v11, v184                                     // 000000005D08: D81A0000 0000B80B
	ds_write_b32 v11, v185 offset:1056                         // 000000005D10: D81A0420 0000B90B
	ds_write_b32 v11, v186 offset:128                          // 000000005D18: D81A0080 0000BA0B
	ds_write_b32 v11, v187 offset:1184                         // 000000005D20: D81A04A0 0000BB0B
	ds_write_b32 v11, v188 offset:4352                         // 000000005D28: D81A1100 0000BC0B
	ds_write_b32 v11, v189 offset:5408                         // 000000005D30: D81A1520 0000BD0B
	ds_write_b32 v11, v190 offset:4480                         // 000000005D38: D81A1180 0000BE0B
	ds_write_b32 v11, v191 offset:5536                         // 000000005D40: D81A15A0 0000BF0B
	ds_write_b32 v11, v192 offset:8704                         // 000000005D48: D81A2200 0000C00B
	ds_write_b32 v11, v193 offset:9760                         // 000000005D50: D81A2620 0000C10B
	ds_write_b32 v11, v194 offset:8832                         // 000000005D58: D81A2280 0000C20B
	ds_write_b32 v11, v195 offset:9888                         // 000000005D60: D81A26A0 0000C30B
	ds_write_b32 v11, v196 offset:13056                        // 000000005D68: D81A3300 0000C40B
	ds_write_b32 v11, v197 offset:14112                        // 000000005D70: D81A3720 0000C50B
	ds_write_b32 v11, v198 offset:13184                        // 000000005D78: D81A3380 0000C60B
	ds_write_b32 v11, v199 offset:14240                        // 000000005D80: D81A37A0 0000C70B
	s_waitcnt lgkmcnt(0)                                       // 000000005D88: BF8CC07F
	s_barrier                                                  // 000000005D8C: BF8A0000
	ds_read_b128 a[128:131], v22                               // 000000005D90: DBFE0000 80000016
	ds_read_b128 a[132:135], v22 offset:512                    // 000000005D98: DBFE0200 84000016
	ds_read_b128 a[136:139], v22 offset:2176                   // 000000005DA0: DBFE0880 88000016
	ds_read_b128 a[140:143], v22 offset:2688                   // 000000005DA8: DBFE0A80 8C000016
	s_waitcnt vmcnt(8) lgkmcnt(0)                              // 000000005DB0: BF8C0078
	s_barrier                                                  // 000000005DB4: BF8A0000
	buffer_load_dword v9, s[24:27], 0 idxen lds                // 000000005DB8: E0512000 80060009
	s_mov_b32 m0, s75                                          // 000000005DC0: BEFC004B
	v_add_u32_e32 v9, s69, v9                                  // 000000005DC4: 68121245
	v_perm_b32 v84, v33, v32, s63                              // 000000005DC8: D1ED0054 00FE4121
	v_perm_b32 v85, v33, v32, s64                              // 000000005DD0: D1ED0055 01024121
	v_perm_b32 v86, v35, v34, s63                              // 000000005DD8: D1ED0056 00FE4523
	v_perm_b32 v87, v35, v34, s64                              // 000000005DE0: D1ED0057 01024523
	ds_write_b32 v13, v84 offset:4352                          // 000000005DE8: D81A1100 0000540D
	ds_write_b32 v13, v85 offset:5408                          // 000000005DF0: D81A1520 0000550D
	ds_write_b32 v13, v86 offset:4480                          // 000000005DF8: D81A1180 0000560D
	ds_write_b32 v13, v87 offset:5536                          // 000000005E00: D81A15A0 0000570D
	ds_write_b32 v11, v32                                      // 000000005E08: D81A0000 0000200B
	ds_write_b32 v11, v33 offset:1056                          // 000000005E10: D81A0420 0000210B
	ds_write_b32 v11, v34 offset:128                           // 000000005E18: D81A0080 0000220B
	ds_write_b32 v11, v35 offset:1184                          // 000000005E20: D81A04A0 0000230B
	buffer_load_dword v9, s[24:27], 0 idxen lds                // 000000005E28: E0512000 80060009
	s_mov_b32 m0, s74                                          // 000000005E30: BEFC004A
	v_add_u32_e32 v9, s69, v9                                  // 000000005E34: 68121245
	v_perm_b32 v88, v41, v40, s63                              // 000000005E38: D1ED0058 00FE5129
	v_perm_b32 v89, v41, v40, s64                              // 000000005E40: D1ED0059 01025129
	v_perm_b32 v90, v43, v42, s63                              // 000000005E48: D1ED005A 00FE552B
	v_perm_b32 v91, v43, v42, s64                              // 000000005E50: D1ED005B 0102552B
	ds_write_b32 v13, v88 offset:13056                         // 000000005E58: D81A3300 0000580D
	ds_write_b32 v13, v89 offset:14112                         // 000000005E60: D81A3720 0000590D
	ds_write_b32 v13, v90 offset:13184                         // 000000005E68: D81A3380 00005A0D
	ds_write_b32 v13, v91 offset:14240                         // 000000005E70: D81A37A0 00005B0D
	ds_write_b32 v11, v40 offset:8704                          // 000000005E78: D81A2200 0000280B
	ds_write_b32 v11, v41 offset:9760                          // 000000005E80: D81A2620 0000290B
	ds_write_b32 v11, v42 offset:8832                          // 000000005E88: D81A2280 00002A0B
	ds_write_b32 v11, v43 offset:9888                          // 000000005E90: D81A26A0 00002B0B
	s_waitcnt vmcnt(1) lgkmcnt(0)                              // 000000005E98: BF8C0071
	s_barrier                                                  // 000000005E9C: BF8A0000
	ds_read_b128 a[144:147], v10                               // 000000005EA0: DBFE0000 9000000A
	ds_read_b128 a[148:151], v10 offset:512                    // 000000005EA8: DBFE0200 9400000A
	ds_read_b128 a[152:155], v10 offset:2176                   // 000000005EB0: DBFE0880 9800000A
	ds_read_b128 a[156:159], v10 offset:2688                   // 000000005EB8: DBFE0A80 9C00000A
	ds_read_b128 v[92:95], v10 offset:8704                     // 000000005EC0: D9FE2200 5C00000A
	ds_read_b128 v[96:99], v10 offset:9216                     // 000000005EC8: D9FE2400 6000000A
	ds_read_b128 v[100:103], v10 offset:10880                  // 000000005ED0: D9FE2A80 6400000A
	ds_read_b128 v[104:107], v10 offset:11392                  // 000000005ED8: D9FE2C80 6800000A
	ds_read_b32 v124, v21 offset:50688                         // 000000005EE0: D86CC600 7C000015
	ds_read_b32 v150, v21 offset:50944                         // 000000005EE8: D86CC700 96000015
	v_accvgpr_write_b32 a160, 0                                // 000000005EF0: D3D940A0 18000080
	v_mov_b32_e32 v152, 0                                      // 000000005EF8: 7F300280
	v_accvgpr_write_b32 a161, 0                                // 000000005EFC: D3D940A1 18000080
	v_mov_b32_e32 v153, 0                                      // 000000005F04: 7F320280
	v_accvgpr_write_b32 a162, 0                                // 000000005F08: D3D940A2 18000080
	v_mov_b32_e32 v154, 0                                      // 000000005F10: 7F340280
	v_accvgpr_write_b32 a163, 0                                // 000000005F14: D3D940A3 18000080
	v_mov_b32_e32 v155, 0                                      // 000000005F1C: 7F360280
	v_accvgpr_write_b32 a164, 0                                // 000000005F20: D3D940A4 18000080
	v_mov_b32_e32 v156, 0                                      // 000000005F28: 7F380280
	v_accvgpr_write_b32 a165, 0                                // 000000005F2C: D3D940A5 18000080
	v_mov_b32_e32 v157, 0                                      // 000000005F34: 7F3A0280
	v_accvgpr_write_b32 a166, 0                                // 000000005F38: D3D940A6 18000080
	v_mov_b32_e32 v158, 0                                      // 000000005F40: 7F3C0280
	v_accvgpr_write_b32 a167, 0                                // 000000005F44: D3D940A7 18000080
	v_mov_b32_e32 v159, 0                                      // 000000005F4C: 7F3E0280
	v_accvgpr_write_b32 a168, 0                                // 000000005F50: D3D940A8 18000080
	v_mov_b32_e32 v160, 0                                      // 000000005F58: 7F400280
	v_accvgpr_write_b32 a169, 0                                // 000000005F5C: D3D940A9 18000080
	v_mov_b32_e32 v161, 0                                      // 000000005F64: 7F420280
	v_accvgpr_write_b32 a170, 0                                // 000000005F68: D3D940AA 18000080
	v_mov_b32_e32 v162, 0                                      // 000000005F70: 7F440280
	v_accvgpr_write_b32 a171, 0                                // 000000005F74: D3D940AB 18000080
	v_mov_b32_e32 v163, 0                                      // 000000005F7C: 7F460280
	v_accvgpr_write_b32 a172, 0                                // 000000005F80: D3D940AC 18000080
	v_mov_b32_e32 v164, 0                                      // 000000005F88: 7F480280
	v_accvgpr_write_b32 a173, 0                                // 000000005F8C: D3D940AD 18000080
	v_mov_b32_e32 v165, 0                                      // 000000005F94: 7F4A0280
	v_accvgpr_write_b32 a174, 0                                // 000000005F98: D3D940AE 18000080
	v_mov_b32_e32 v166, 0                                      // 000000005FA0: 7F4C0280
	v_accvgpr_write_b32 a175, 0                                // 000000005FA4: D3D940AF 18000080
	v_mov_b32_e32 v167, 0                                      // 000000005FAC: 7F4E0280
	v_accvgpr_write_b32 a176, 0                                // 000000005FB0: D3D940B0 18000080
	v_mov_b32_e32 v168, 0                                      // 000000005FB8: 7F500280
	v_accvgpr_write_b32 a177, 0                                // 000000005FBC: D3D940B1 18000080
	v_mov_b32_e32 v169, 0                                      // 000000005FC4: 7F520280
	v_accvgpr_write_b32 a178, 0                                // 000000005FC8: D3D940B2 18000080
	v_mov_b32_e32 v170, 0                                      // 000000005FD0: 7F540280
	v_accvgpr_write_b32 a179, 0                                // 000000005FD4: D3D940B3 18000080
	v_mov_b32_e32 v171, 0                                      // 000000005FDC: 7F560280
	v_accvgpr_write_b32 a180, 0                                // 000000005FE0: D3D940B4 18000080
	v_mov_b32_e32 v172, 0                                      // 000000005FE8: 7F580280
	v_accvgpr_write_b32 a181, 0                                // 000000005FEC: D3D940B5 18000080
	v_mov_b32_e32 v173, 0                                      // 000000005FF4: 7F5A0280
	v_accvgpr_write_b32 a182, 0                                // 000000005FF8: D3D940B6 18000080
	v_mov_b32_e32 v174, 0                                      // 000000006000: 7F5C0280
	v_accvgpr_write_b32 a183, 0                                // 000000006004: D3D940B7 18000080
	v_mov_b32_e32 v175, 0                                      // 00000000600C: 7F5E0280
	v_accvgpr_write_b32 a184, 0                                // 000000006010: D3D940B8 18000080
	v_mov_b32_e32 v176, 0                                      // 000000006018: 7F600280
	v_accvgpr_write_b32 a185, 0                                // 00000000601C: D3D940B9 18000080
	v_mov_b32_e32 v177, 0                                      // 000000006024: 7F620280
	v_accvgpr_write_b32 a186, 0                                // 000000006028: D3D940BA 18000080
	v_mov_b32_e32 v178, 0                                      // 000000006030: 7F640280
	v_accvgpr_write_b32 a187, 0                                // 000000006034: D3D940BB 18000080
	v_mov_b32_e32 v179, 0                                      // 00000000603C: 7F660280
	v_accvgpr_write_b32 a188, 0                                // 000000006040: D3D940BC 18000080
	v_mov_b32_e32 v180, 0                                      // 000000006048: 7F680280
	v_accvgpr_write_b32 a189, 0                                // 00000000604C: D3D940BD 18000080
	v_mov_b32_e32 v181, 0                                      // 000000006054: 7F6A0280
	v_accvgpr_write_b32 a190, 0                                // 000000006058: D3D940BE 18000080
	v_mov_b32_e32 v182, 0                                      // 000000006060: 7F6C0280
	v_accvgpr_write_b32 a191, 0                                // 000000006064: D3D940BF 18000080
	v_mov_b32_e32 v183, 0                                      // 00000000606C: 7F6E0280
	v_accvgpr_write_b32 a192, 0                                // 000000006070: D3D940C0 18000080
	v_mov_b32_e32 v184, 0                                      // 000000006078: 7F700280
	v_accvgpr_write_b32 a193, 0                                // 00000000607C: D3D940C1 18000080
	v_mov_b32_e32 v185, 0                                      // 000000006084: 7F720280
	v_accvgpr_write_b32 a194, 0                                // 000000006088: D3D940C2 18000080
	v_mov_b32_e32 v186, 0                                      // 000000006090: 7F740280
	v_accvgpr_write_b32 a195, 0                                // 000000006094: D3D940C3 18000080
	v_mov_b32_e32 v187, 0                                      // 00000000609C: 7F760280
	v_accvgpr_write_b32 a196, 0                                // 0000000060A0: D3D940C4 18000080
	v_mov_b32_e32 v188, 0                                      // 0000000060A8: 7F780280
	v_accvgpr_write_b32 a197, 0                                // 0000000060AC: D3D940C5 18000080
	v_mov_b32_e32 v189, 0                                      // 0000000060B4: 7F7A0280
	v_accvgpr_write_b32 a198, 0                                // 0000000060B8: D3D940C6 18000080
	v_mov_b32_e32 v190, 0                                      // 0000000060C0: 7F7C0280
	v_accvgpr_write_b32 a199, 0                                // 0000000060C4: D3D940C7 18000080
	v_mov_b32_e32 v191, 0                                      // 0000000060CC: 7F7E0280
	v_accvgpr_write_b32 a200, 0                                // 0000000060D0: D3D940C8 18000080
	v_mov_b32_e32 v192, 0                                      // 0000000060D8: 7F800280
	v_accvgpr_write_b32 a201, 0                                // 0000000060DC: D3D940C9 18000080
	v_mov_b32_e32 v193, 0                                      // 0000000060E4: 7F820280
	v_accvgpr_write_b32 a202, 0                                // 0000000060E8: D3D940CA 18000080
	v_mov_b32_e32 v194, 0                                      // 0000000060F0: 7F840280
	v_accvgpr_write_b32 a203, 0                                // 0000000060F4: D3D940CB 18000080
	v_mov_b32_e32 v195, 0                                      // 0000000060FC: 7F860280
	v_accvgpr_write_b32 a204, 0                                // 000000006100: D3D940CC 18000080
	v_mov_b32_e32 v196, 0                                      // 000000006108: 7F880280
	v_accvgpr_write_b32 a205, 0                                // 00000000610C: D3D940CD 18000080
	v_mov_b32_e32 v197, 0                                      // 000000006114: 7F8A0280
	v_accvgpr_write_b32 a206, 0                                // 000000006118: D3D940CE 18000080
	v_mov_b32_e32 v198, 0                                      // 000000006120: 7F8C0280
	v_accvgpr_write_b32 a207, 0                                // 000000006124: D3D940CF 18000080
	v_mov_b32_e32 v199, 0                                      // 00000000612C: 7F8E0280
	v_accvgpr_write_b32 a208, 0                                // 000000006130: D3D940D0 18000080
	v_mov_b32_e32 v200, 0                                      // 000000006138: 7F900280
	v_accvgpr_write_b32 a209, 0                                // 00000000613C: D3D940D1 18000080
	v_mov_b32_e32 v201, 0                                      // 000000006144: 7F920280
	v_accvgpr_write_b32 a210, 0                                // 000000006148: D3D940D2 18000080
	v_mov_b32_e32 v202, 0                                      // 000000006150: 7F940280
	v_accvgpr_write_b32 a211, 0                                // 000000006154: D3D940D3 18000080
	v_mov_b32_e32 v203, 0                                      // 00000000615C: 7F960280
	v_accvgpr_write_b32 a212, 0                                // 000000006160: D3D940D4 18000080
	v_mov_b32_e32 v204, 0                                      // 000000006168: 7F980280
	v_accvgpr_write_b32 a213, 0                                // 00000000616C: D3D940D5 18000080
	v_mov_b32_e32 v205, 0                                      // 000000006174: 7F9A0280
	v_accvgpr_write_b32 a214, 0                                // 000000006178: D3D940D6 18000080
	v_mov_b32_e32 v206, 0                                      // 000000006180: 7F9C0280
	v_accvgpr_write_b32 a215, 0                                // 000000006184: D3D940D7 18000080
	v_mov_b32_e32 v207, 0                                      // 00000000618C: 7F9E0280
	v_accvgpr_write_b32 a216, 0                                // 000000006190: D3D940D8 18000080
	v_mov_b32_e32 v208, 0                                      // 000000006198: 7FA00280
	v_accvgpr_write_b32 a217, 0                                // 00000000619C: D3D940D9 18000080
	v_mov_b32_e32 v209, 0                                      // 0000000061A4: 7FA20280
	v_accvgpr_write_b32 a218, 0                                // 0000000061A8: D3D940DA 18000080
	v_mov_b32_e32 v210, 0                                      // 0000000061B0: 7FA40280
	v_accvgpr_write_b32 a219, 0                                // 0000000061B4: D3D940DB 18000080
	v_mov_b32_e32 v211, 0                                      // 0000000061BC: 7FA60280
	v_accvgpr_write_b32 a220, 0                                // 0000000061C0: D3D940DC 18000080
	v_mov_b32_e32 v212, 0                                      // 0000000061C8: 7FA80280
	v_accvgpr_write_b32 a221, 0                                // 0000000061CC: D3D940DD 18000080
	v_mov_b32_e32 v213, 0                                      // 0000000061D4: 7FAA0280
	v_accvgpr_write_b32 a222, 0                                // 0000000061D8: D3D940DE 18000080
	v_mov_b32_e32 v214, 0                                      // 0000000061E0: 7FAC0280
	v_accvgpr_write_b32 a223, 0                                // 0000000061E4: D3D940DF 18000080
	v_mov_b32_e32 v215, 0                                      // 0000000061EC: 7FAE0280
	v_accvgpr_write_b32 a224, 0                                // 0000000061F0: D3D940E0 18000080
	v_mov_b32_e32 v216, 0                                      // 0000000061F8: 7FB00280
	v_accvgpr_write_b32 a225, 0                                // 0000000061FC: D3D940E1 18000080
	v_mov_b32_e32 v217, 0                                      // 000000006204: 7FB20280
	v_accvgpr_write_b32 a226, 0                                // 000000006208: D3D940E2 18000080
	v_mov_b32_e32 v218, 0                                      // 000000006210: 7FB40280
	v_accvgpr_write_b32 a227, 0                                // 000000006214: D3D940E3 18000080
	v_mov_b32_e32 v219, 0                                      // 00000000621C: 7FB60280
	v_accvgpr_write_b32 a228, 0                                // 000000006220: D3D940E4 18000080
	v_mov_b32_e32 v220, 0                                      // 000000006228: 7FB80280
	v_accvgpr_write_b32 a229, 0                                // 00000000622C: D3D940E5 18000080
	v_mov_b32_e32 v221, 0                                      // 000000006234: 7FBA0280
	v_accvgpr_write_b32 a230, 0                                // 000000006238: D3D940E6 18000080
	v_mov_b32_e32 v222, 0                                      // 000000006240: 7FBC0280
	v_accvgpr_write_b32 a231, 0                                // 000000006244: D3D940E7 18000080
	v_mov_b32_e32 v223, 0                                      // 00000000624C: 7FBE0280
	v_accvgpr_write_b32 a232, 0                                // 000000006250: D3D940E8 18000080
	v_mov_b32_e32 v224, 0                                      // 000000006258: 7FC00280
	v_accvgpr_write_b32 a233, 0                                // 00000000625C: D3D940E9 18000080
	v_mov_b32_e32 v225, 0                                      // 000000006264: 7FC20280
	v_accvgpr_write_b32 a234, 0                                // 000000006268: D3D940EA 18000080
	v_mov_b32_e32 v226, 0                                      // 000000006270: 7FC40280
	v_accvgpr_write_b32 a235, 0                                // 000000006274: D3D940EB 18000080
	v_mov_b32_e32 v227, 0                                      // 00000000627C: 7FC60280
	v_accvgpr_write_b32 a236, 0                                // 000000006280: D3D940EC 18000080
	v_mov_b32_e32 v228, 0                                      // 000000006288: 7FC80280
	v_accvgpr_write_b32 a237, 0                                // 00000000628C: D3D940ED 18000080
	v_mov_b32_e32 v229, 0                                      // 000000006294: 7FCA0280
	v_accvgpr_write_b32 a238, 0                                // 000000006298: D3D940EE 18000080
	v_mov_b32_e32 v230, 0                                      // 0000000062A0: 7FCC0280
	v_accvgpr_write_b32 a239, 0                                // 0000000062A4: D3D940EF 18000080
	v_mov_b32_e32 v231, 0                                      // 0000000062AC: 7FCE0280
	v_accvgpr_write_b32 a240, 0                                // 0000000062B0: D3D940F0 18000080
	v_mov_b32_e32 v232, 0                                      // 0000000062B8: 7FD00280
	v_accvgpr_write_b32 a241, 0                                // 0000000062BC: D3D940F1 18000080
	v_mov_b32_e32 v233, 0                                      // 0000000062C4: 7FD20280
	v_accvgpr_write_b32 a242, 0                                // 0000000062C8: D3D940F2 18000080
	v_mov_b32_e32 v234, 0                                      // 0000000062D0: 7FD40280
	v_accvgpr_write_b32 a243, 0                                // 0000000062D4: D3D940F3 18000080
	v_mov_b32_e32 v235, 0                                      // 0000000062DC: 7FD60280
	v_accvgpr_write_b32 a244, 0                                // 0000000062E0: D3D940F4 18000080
	v_mov_b32_e32 v236, 0                                      // 0000000062E8: 7FD80280
	v_accvgpr_write_b32 a245, 0                                // 0000000062EC: D3D940F5 18000080
	v_mov_b32_e32 v237, 0                                      // 0000000062F4: 7FDA0280
	v_accvgpr_write_b32 a246, 0                                // 0000000062F8: D3D940F6 18000080
	v_mov_b32_e32 v238, 0                                      // 000000006300: 7FDC0280
	v_accvgpr_write_b32 a247, 0                                // 000000006304: D3D940F7 18000080
	v_mov_b32_e32 v239, 0                                      // 00000000630C: 7FDE0280
	v_accvgpr_write_b32 a248, 0                                // 000000006310: D3D940F8 18000080
	v_mov_b32_e32 v240, 0                                      // 000000006318: 7FE00280
	v_accvgpr_write_b32 a249, 0                                // 00000000631C: D3D940F9 18000080
	v_mov_b32_e32 v241, 0                                      // 000000006324: 7FE20280
	v_accvgpr_write_b32 a250, 0                                // 000000006328: D3D940FA 18000080
	v_mov_b32_e32 v242, 0                                      // 000000006330: 7FE40280
	v_accvgpr_write_b32 a251, 0                                // 000000006334: D3D940FB 18000080
	v_mov_b32_e32 v243, 0                                      // 00000000633C: 7FE60280
	v_accvgpr_write_b32 a252, 0                                // 000000006340: D3D940FC 18000080
	v_mov_b32_e32 v244, 0                                      // 000000006348: 7FE80280
	v_accvgpr_write_b32 a253, 0                                // 00000000634C: D3D940FD 18000080
	v_mov_b32_e32 v245, 0                                      // 000000006354: 7FEA0280
	v_accvgpr_write_b32 a254, 0                                // 000000006358: D3D940FE 18000080
	v_mov_b32_e32 v246, 0                                      // 000000006360: 7FEC0280
	v_accvgpr_write_b32 a255, 0                                // 000000006364: D3D940FF 18000080
	v_mov_b32_e32 v247, 0                                      // 00000000636C: 7FEE0280
	v_mov_b32_e32 v136, 0                                      // 000000006370: 7F100280
	v_mov_b32_e32 v137, 0                                      // 000000006374: 7F120280
	v_mov_b32_e32 v138, 0                                      // 000000006378: 7F140280
	v_mov_b32_e32 v139, 0                                      // 00000000637C: 7F160280
	v_mov_b32_e32 v140, 0                                      // 000000006380: 7F180280
	v_mov_b32_e32 v141, 0                                      // 000000006384: 7F1A0280
	v_mov_b32_e32 v142, 0                                      // 000000006388: 7F1C0280
	v_mov_b32_e32 v143, 0                                      // 00000000638C: 7F1E0280
	v_mov_b32_e32 v128, 0                                      // 000000006390: 7F000280
	v_mov_b32_e32 v129, 0                                      // 000000006394: 7F020280
	v_mov_b32_e32 v130, 0                                      // 000000006398: 7F040280
	v_mov_b32_e32 v131, 0                                      // 00000000639C: 7F060280
	v_mov_b32_e32 v132, 0                                      // 0000000063A0: 7F080280
	v_mov_b32_e32 v133, 0                                      // 0000000063A4: 7F0A0280
	v_mov_b32_e32 v134, 0                                      // 0000000063A8: 7F0C0280
	v_mov_b32_e32 v135, 0                                      // 0000000063AC: 7F0E0280
	s_waitcnt lgkmcnt(0)                                       // 0000000063B0: BF8CC07F
	s_barrier                                                  // 0000000063B4: BF8A0000
	v_mov_b32_e32 v32, 0                                       // 0000000063B8: 7E400280
	s_mov_b64 exec, s[86:87]                                   // 0000000063BC: BEFE0156
	buffer_load_dword v32, v1, s[8:11], 0 idxen                // 0000000063C0: E0502000 80022001
	s_mov_b64 exec, s[84:85]                                   // 0000000063C8: BEFE0154
	v_mov_b32_e32 v33, 0                                       // 0000000063CC: 7E420280
	s_mov_b64 exec, s[86:87]                                   // 0000000063D0: BEFE0156
	buffer_load_dword v33, v2, s[8:11], 0 idxen                // 0000000063D4: E0502000 80022102
	s_mov_b64 exec, s[84:85]                                   // 0000000063DC: BEFE0154
	v_mov_b32_e32 v34, 0                                       // 0000000063E0: 7E440280
	s_mov_b64 exec, s[86:87]                                   // 0000000063E4: BEFE0156
	buffer_load_dword v34, v3, s[8:11], 0 idxen                // 0000000063E8: E0502000 80022203
	s_mov_b64 exec, s[84:85]                                   // 0000000063F0: BEFE0154
	v_mov_b32_e32 v35, 0                                       // 0000000063F4: 7E460280
	s_mov_b64 exec, s[86:87]                                   // 0000000063F8: BEFE0156
	buffer_load_dword v35, v4, s[8:11], 0 idxen                // 0000000063FC: E0502000 80022304
	s_mov_b64 exec, s[84:85]                                   // 000000006404: BEFE0154
	v_mov_b32_e32 v40, 0                                       // 000000006408: 7E500280
	s_mov_b64 exec, s[86:87]                                   // 00000000640C: BEFE0156
	buffer_load_dword v40, v248, s[20:23], 0 idxen             // 000000006410: E0502000 800528F8
	s_mov_b64 exec, s[84:85]                                   // 000000006418: BEFE0154
	v_mov_b32_e32 v41, 0                                       // 00000000641C: 7E520280
	s_mov_b64 exec, s[86:87]                                   // 000000006420: BEFE0156
	buffer_load_dword v41, v249, s[20:23], 0 idxen             // 000000006424: E0502000 800529F9
	s_mov_b64 exec, s[84:85]                                   // 00000000642C: BEFE0154
	v_mov_b32_e32 v42, 0                                       // 000000006430: 7E540280
	s_mov_b64 exec, s[86:87]                                   // 000000006434: BEFE0156
	buffer_load_dword v42, v250, s[20:23], 0 idxen             // 000000006438: E0502000 80052AFA
	s_mov_b64 exec, s[84:85]                                   // 000000006440: BEFE0154
	v_mov_b32_e32 v43, 0                                       // 000000006444: 7E560280
	s_mov_b64 exec, s[86:87]                                   // 000000006448: BEFE0156
	buffer_load_dword v43, v251, s[20:23], 0 idxen             // 00000000644C: E0502000 80052BFB
	s_mov_b64 exec, s[84:85]                                   // 000000006454: BEFE0154
	buffer_load_dword v9, s[24:27], 0 idxen lds                // 000000006458: E0512000 80060009
	s_mov_b32 m0, s75                                          // 000000006460: BEFC004B
	v_add_u32_e32 v9, s69, v9                                  // 000000006464: 68121245
	v_add_u32_e32 v1, s68, v1                                  // 000000006468: 68020244
	v_add_u32_e32 v2, s68, v2                                  // 00000000646C: 68040444
	v_add_u32_e32 v3, s68, v3                                  // 000000006470: 68060644
	v_add_u32_e32 v4, s68, v4                                  // 000000006474: 68080844
	v_add_u32_e32 v248, s95, v248                              // 000000006478: 69F1F05F
	v_add_u32_e32 v249, s95, v249                              // 00000000647C: 69F3F25F
	v_add_u32_e32 v250, s95, v250                              // 000000006480: 69F5F45F
	v_add_u32_e32 v251, s95, v251                              // 000000006484: 69F7F65F
	v_mul_f32_e32 v124, s48, v124                              // 000000006488: 0AF8F830
	v_perm_b32 v84, v37, v36, s63                              // 00000000648C: D1ED0054 00FE4925
	v_perm_b32 v85, v37, v36, s64                              // 000000006494: D1ED0055 01024925
	v_perm_b32 v86, v39, v38, s63                              // 00000000649C: D1ED0056 00FE4D27
	v_perm_b32 v87, v39, v38, s64                              // 0000000064A4: D1ED0057 01024D27
	v_perm_b32 v88, v45, v44, s63                              // 0000000064AC: D1ED0058 00FE592D
	v_perm_b32 v89, v45, v44, s64                              // 0000000064B4: D1ED0059 0102592D
	v_perm_b32 v90, v47, v46, s63                              // 0000000064BC: D1ED005A 00FE5D2F
	v_perm_b32 v91, v47, v46, s64                              // 0000000064C4: D1ED005B 01025D2F
	v_mov_b32_dpp v127, v124 quad_perm:[3,3,3,3] row_mask:0xf bank_mask:0xf// 0000000064CC: 7EFE02FA FF00FF7C
	v_mov_b32_dpp v126, v124 quad_perm:[2,2,2,2] row_mask:0xf bank_mask:0xf// 0000000064D4: 7EFC02FA FF00AA7C
	v_mov_b32_dpp v125, v124 quad_perm:[1,1,1,1] row_mask:0xf bank_mask:0xf// 0000000064DC: 7EFA02FA FF00557C
	v_mov_b32_dpp v124, v124 quad_perm:[0,0,0,0] row_mask:0xf bank_mask:0xf// 0000000064E4: 7EF802FA FF00007C
	s_waitcnt vmcnt(9)                                         // 0000000064EC: BF8C0F79
	s_barrier                                                  // 0000000064F0: BF8A0000
	s_cmp_lt_i32 s46, 2                                        // 0000000064F4: BF04822E
	s_cbranch_scc0 label_0F19                                  // 0000000064F8: BF840550
	s_nop 0                                                    // 0000000064FC: BF800000
	s_nop 0                                                    // 000000006500: BF800000

0000000000006504 <label_09C1>:
	s_waitcnt lgkmcnt(0)                                       // 000000006504: BF8CC07F
	s_barrier                                                  // 000000006508: BF8A0000
	v_mfma_f32_16x16x16_f16 v[48:51], a[144:145], a[0:1], 0    // 00000000650C: D3CD0030 1A020190
	ds_write_b32 v11, v44 offset:8704                          // 000000006514: D81A2200 00002C0B
	ds_write_b32 v11, v45 offset:9760                          // 00000000651C: D81A2620 00002D0B
	v_mfma_f32_16x16x16_f16 v[48:51], a[146:147], a[2:3], v[48:51]// 000000006524: D3CD0030 1CC20592
	v_mul_f32_e32 v128, s47, v128                              // 00000000652C: 0B01002F
	v_mul_f32_e32 v129, s47, v129                              // 000000006530: 0B03022F
	v_mfma_f32_16x16x16_f16 v[48:51], a[148:149], a[4:5], v[48:51]// 000000006534: D3CD0030 1CC20994
	ds_write_b32 v11, v46 offset:8832                          // 00000000653C: D81A2280 00002E0B
	ds_write_b32 v11, v47 offset:9888                          // 000000006544: D81A26A0 00002F0B
	v_mfma_f32_16x16x16_f16 v[48:51], a[150:151], a[6:7], v[48:51]// 00000000654C: D3CD0030 1CC20D96
	v_mul_f32_e32 v130, s47, v130                              // 000000006554: 0B05042F
	v_mul_f32_e32 v131, s47, v131                              // 000000006558: 0B07062F
	v_mfma_f32_16x16x16_f16 v[48:51], a[152:153], a[8:9], v[48:51]// 00000000655C: D3CD0030 1CC21198
	ds_write_b64 v20, v[128:129] offset:24320                  // 000000006564: D89A5F00 00008014
	v_mfma_f32_16x16x16_f16 v[48:51], a[154:155], a[10:11], v[48:51]// 00000000656C: D3CD0030 1CC2159A
	v_mul_f32_e32 v132, s47, v132                              // 000000006574: 0B09082F
	v_mul_f32_e32 v133, s47, v133                              // 000000006578: 0B0B0A2F
	v_mfma_f32_16x16x16_f16 v[48:51], a[156:157], a[12:13], v[48:51]// 00000000657C: D3CD0030 1CC2199C
	ds_write_b64 v20, v[130:131] offset:24832                  // 000000006584: D89A6100 00008214
	v_mfma_f32_16x16x16_f16 v[48:51], a[158:159], a[14:15], v[48:51]// 00000000658C: D3CD0030 1CC21D9E
	v_mul_f32_e32 v134, s47, v134                              // 000000006594: 0B0D0C2F
	v_mul_f32_e32 v135, s47, v135                              // 000000006598: 0B0F0E2F
	v_mfma_f32_16x16x16_f16 v[52:55], a[144:145], a[16:17], 0  // 00000000659C: D3CD0034 1A022190
	ds_write_b64 v20, v[132:133] offset:25344                  // 0000000065A4: D89A6300 00008414
	v_mfma_f32_16x16x16_f16 v[52:55], a[146:147], a[18:19], v[52:55]// 0000000065AC: D3CD0034 1CD22592
	buffer_atomic_add_f32 v140, v7, s[32:35], 0 offen offset:256// 0000000065B4: E1341100 80088C07
	v_mfma_f32_16x16x16_f16 v[52:55], a[148:149], a[20:21], v[52:55]// 0000000065BC: D3CD0034 1CD22994
	ds_write_b64 v20, v[134:135] offset:25856                  // 0000000065C4: D89A6500 00008614
	v_mfma_f32_16x16x16_f16 v[52:55], a[150:151], a[22:23], v[52:55]// 0000000065CC: D3CD0034 1CD22D96
	v_mfma_f32_16x16x16_f16 v[52:55], a[152:153], a[24:25], v[52:55]// 0000000065D4: D3CD0034 1CD23198
	ds_read_b128 v[108:111], v12 offset:13056                  // 0000000065DC: D9FE3300 6C00000C
	ds_write_b32 v11, v36                                      // 0000000065E4: D81A0000 0000240B
	v_mfma_f32_16x16x16_f16 v[52:55], a[154:155], a[26:27], v[52:55]// 0000000065EC: D3CD0034 1CD2359A
	buffer_atomic_add_f32 v141, v8, s[32:35], 0 offen offset:256// 0000000065F4: E1341100 80088D08
	v_mfma_f32_16x16x16_f16 v[52:55], a[156:157], a[28:29], v[52:55]// 0000000065FC: D3CD0034 1CD2399C
	v_mfma_f32_16x16x16_f16 v[52:55], a[158:159], a[30:31], v[52:55]// 000000006604: D3CD0034 1CD23D9E
	ds_read_b128 v[112:115], v12 offset:13568                  // 00000000660C: D9FE3500 7000000C
	ds_write_b32 v11, v37 offset:1056                          // 000000006614: D81A0420 0000250B
	v_mfma_f32_16x16x16_f16 v[56:59], a[144:145], a[32:33], 0  // 00000000661C: D3CD0038 1A024190
	buffer_atomic_add_f32 v142, v7, s[32:35], 0 offen offset:384// 000000006624: E1341180 80088E07
	v_mfma_f32_16x16x16_f16 v[56:59], a[146:147], a[34:35], v[56:59]// 00000000662C: D3CD0038 1CE24592
	v_mfma_f32_16x16x16_f16 v[56:59], a[148:149], a[36:37], v[56:59]// 000000006634: D3CD0038 1CE24994
	ds_read_b128 v[116:119], v12 offset:15232                  // 00000000663C: D9FE3B80 7400000C
	ds_write_b32 v11, v38 offset:128                           // 000000006644: D81A0080 0000260B
	v_mfma_f32_16x16x16_f16 v[56:59], a[150:151], a[38:39], v[56:59]// 00000000664C: D3CD0038 1CE24D96
	v_mfma_f32_16x16x16_f16 v[56:59], a[152:153], a[40:41], v[56:59]// 000000006654: D3CD0038 1CE25198
	buffer_atomic_add_f32 v143, v8, s[32:35], 0 offen offset:384// 00000000665C: E1341180 80088F08
	v_mfma_f32_16x16x16_f16 v[56:59], a[154:155], a[42:43], v[56:59]// 000000006664: D3CD0038 1CE2559A
	ds_read_b128 v[120:123], v12 offset:15744                  // 00000000666C: D9FE3D80 7800000C
	ds_write_b32 v11, v39 offset:1184                          // 000000006674: D81A04A0 0000270B
	v_mfma_f32_16x16x16_f16 v[56:59], a[156:157], a[44:45], v[56:59]// 00000000667C: D3CD0038 1CE2599C
	v_mfma_f32_16x16x16_f16 v[56:59], a[158:159], a[46:47], v[56:59]// 000000006684: D3CD0038 1CE25D9E
	s_cmp_lt_i32 s97, 0xc0                                     // 00000000668C: BF04FF61 000000C0
	s_cbranch_scc0 label_0A78                                  // 000000006694: BF84004D
	s_cmp_le_i32 s97, 64                                       // 000000006698: BF05C061
	s_cbranch_scc1 label_0A2F                                  // 00000000669C: BF850007
	s_cmp_le_i32 s97, 0x80                                     // 0000000066A0: BF05FF61 00000080
	s_cbranch_scc1 label_0A47                                  // 0000000066A8: BF850017
	s_cmp_lt_i32 s97, 0xc0                                     // 0000000066AC: BF04FF61 000000C0
	s_cbranch_scc1 label_0A5F                                  // 0000000066B4: BF85002C
	s_branch label_0A78                                        // 0000000066B8: BF820044

00000000000066bc <label_0A2F>:
	s_mov_b32 s60, 0                                           // 0000000066BC: BEBC0080
	v_and_b32_e32 v28, 15, v0                                  // 0000000066C0: 2638008F
	v_add_u32_e64 v28, v28, s60                                // 0000000066C4: D134001C 0000791C
	v_mul_i32_i24_e64 v29, s46, 16                             // 0000000066CC: D106001D 0001202E
	v_add_u32_e32 v28, v28, v29                                // 0000000066D4: 68383B1C
	v_cmp_lt_u32_e64 s[60:61], v28, s97                        // 0000000066D8: D0C9003C 0000C31C
	s_nop 1                                                    // 0000000066E0: BF800001
	v_cndmask_b32_e64 v48, v151, v48, s[60:61]                 // 0000000066E4: D1000030 00F26197
	v_cndmask_b32_e64 v49, v151, v49, s[60:61]                 // 0000000066EC: D1000031 00F26397
	v_cndmask_b32_e64 v50, v151, v50, s[60:61]                 // 0000000066F4: D1000032 00F26597
	v_cndmask_b32_e64 v51, v151, v51, s[60:61]                 // 0000000066FC: D1000033 00F26797
	s_branch label_0A5A                                        // 000000006704: BF820013

0000000000006708 <label_0A47>:
	s_mov_b32 s60, 64                                          // 000000006708: BEBC00C0
	v_and_b32_e32 v28, 15, v0                                  // 00000000670C: 2638008F
	v_add_u32_e64 v28, v28, s60                                // 000000006710: D134001C 0000791C
	v_mul_i32_i24_e64 v29, s46, 16                             // 000000006718: D106001D 0001202E
	v_add_u32_e32 v28, v28, v29                                // 000000006720: 68383B1C
	v_cmp_lt_u32_e64 s[60:61], v28, s97                        // 000000006724: D0C9003C 0000C31C
	s_nop 1                                                    // 00000000672C: BF800001
	v_cndmask_b32_e64 v52, v151, v52, s[60:61]                 // 000000006730: D1000034 00F26997
	v_cndmask_b32_e64 v53, v151, v53, s[60:61]                 // 000000006738: D1000035 00F26B97
	v_cndmask_b32_e64 v54, v151, v54, s[60:61]                 // 000000006740: D1000036 00F26D97
	v_cndmask_b32_e64 v55, v151, v55, s[60:61]                 // 000000006748: D1000037 00F26F97
	s_branch label_0A73                                        // 000000006750: BF820019

0000000000006754 <label_0A5A>:
	v_mov_b32_e32 v52, v151                                    // 000000006754: 7E680397
	v_mov_b32_e32 v53, v151                                    // 000000006758: 7E6A0397
	v_mov_b32_e32 v54, v151                                    // 00000000675C: 7E6C0397
	v_mov_b32_e32 v55, v151                                    // 000000006760: 7E6E0397
	s_branch label_0A73                                        // 000000006764: BF820014

0000000000006768 <label_0A5F>:
	s_mov_b32 s60, 0x80                                        // 000000006768: BEBC00FF 00000080
	v_and_b32_e32 v28, 15, v0                                  // 000000006770: 2638008F
	v_add_u32_e64 v28, v28, s60                                // 000000006774: D134001C 0000791C
	v_mul_i32_i24_e64 v29, s46, 16                             // 00000000677C: D106001D 0001202E
	v_add_u32_e32 v28, v28, v29                                // 000000006784: 68383B1C
	v_cmp_lt_u32_e64 s[60:61], v28, s97                        // 000000006788: D0C9003C 0000C31C
	s_nop 1                                                    // 000000006790: BF800001
	v_cndmask_b32_e64 v56, v151, v56, s[60:61]                 // 000000006794: D1000038 00F27197
	v_cndmask_b32_e64 v57, v151, v57, s[60:61]                 // 00000000679C: D1000039 00F27397
	v_cndmask_b32_e64 v58, v151, v58, s[60:61]                 // 0000000067A4: D100003A 00F27597
	v_cndmask_b32_e64 v59, v151, v59, s[60:61]                 // 0000000067AC: D100003B 00F27797
	s_branch label_0A78                                        // 0000000067B4: BF820005

00000000000067b8 <label_0A73>:
	v_mov_b32_e32 v56, v151                                    // 0000000067B8: 7E700397
	v_mov_b32_e32 v57, v151                                    // 0000000067BC: 7E720397
	v_mov_b32_e32 v58, v151                                    // 0000000067C0: 7E740397
	v_mov_b32_e32 v59, v151                                    // 0000000067C4: 7E760397
	s_branch label_0A78                                        // 0000000067C8: BF820000

00000000000067cc <label_0A78>:
	s_waitcnt lgkmcnt(8)                                       // 0000000067CC: BF8CC87F
	s_barrier                                                  // 0000000067D0: BF8A0000
	v_mfma_f32_16x16x16_f16 v[72:75], v[92:93], a[96:97], 0    // 0000000067D4: D3CD0048 1202C15C
	ds_read_b128 a[144:147], v12 offset:4352                   // 0000000067DC: DBFE1100 9000000C
	ds_read_b128 a[148:151], v12 offset:4864                   // 0000000067E4: DBFE1300 9400000C
	v_mfma_f32_16x16x16_f16 v[72:75], v[94:95], a[98:99], v[72:75]// 0000000067EC: D3CD0048 1522C55E
	v_fma_f32 v48, v48, s57, -v124                             // 0000000067F4: D1CB0030 85F07330
	v_fma_f32 v49, v49, s57, -v125                             // 0000000067FC: D1CB0031 85F47331
	v_fma_f32 v50, v50, s57, -v126                             // 000000006804: D1CB0032 85F87332
	v_mfma_f32_16x16x16_f16 v[72:75], v[96:97], a[100:101], v[72:75]// 00000000680C: D3CD0048 1522C960
	v_fma_f32 v51, v51, s57, -v127                             // 000000006814: D1CB0033 85FC7333
	v_fma_f32 v52, v52, s57, -v124                             // 00000000681C: D1CB0034 85F07334
	v_fma_f32 v53, v53, s57, -v125                             // 000000006824: D1CB0035 85F47335
	v_mfma_f32_16x16x16_f16 v[72:75], v[98:99], a[102:103], v[72:75]// 00000000682C: D3CD0048 1522CD62
	v_fma_f32 v54, v54, s57, -v126                             // 000000006834: D1CB0036 85F87336
	v_fma_f32 v55, v55, s57, -v127                             // 00000000683C: D1CB0037 85FC7337
	v_fma_f32 v56, v56, s57, -v124                             // 000000006844: D1CB0038 85F07338
	v_mfma_f32_16x16x16_f16 v[72:75], v[100:101], a[104:105], v[72:75]// 00000000684C: D3CD0048 1522D164
	ds_read_b128 a[152:155], v12 offset:6528                   // 000000006854: DBFE1980 9800000C
	ds_read_b128 a[156:159], v12 offset:7040                   // 00000000685C: DBFE1B80 9C00000C
	v_mfma_f32_16x16x16_f16 v[72:75], v[102:103], a[106:107], v[72:75]// 000000006864: D3CD0048 1522D566
	v_fma_f32 v57, v57, s57, -v125                             // 00000000686C: D1CB0039 85F47339
	v_fma_f32 v58, v58, s57, -v126                             // 000000006874: D1CB003A 85F8733A
	v_fma_f32 v59, v59, s57, -v127                             // 00000000687C: D1CB003B 85FC733B
	v_mfma_f32_16x16x16_f16 v[72:75], v[104:105], a[108:109], v[72:75]// 000000006884: D3CD0048 1522D968
	v_exp_f32_e32 v48, v48                                     // 00000000688C: 7E604130
	v_mfma_f32_16x16x16_f16 v[72:75], v[106:107], a[110:111], v[72:75]// 000000006890: D3CD0048 1522DD6A
	v_exp_f32_e32 v49, v49                                     // 000000006898: 7E624131
	v_mfma_f32_16x16x16_f16 v[76:79], v[92:93], a[112:113], 0  // 00000000689C: D3CD004C 1202E15C
	ds_read_b64 v[136:137], v19 offset:24320                   // 0000000068A4: D8EC5F00 88000013
	ds_read_b64 v[138:139], v19 offset:26368                   // 0000000068AC: D8EC6700 8A000013
	v_mfma_f32_16x16x16_f16 v[76:79], v[94:95], a[114:115], v[76:79]// 0000000068B4: D3CD004C 1532E55E
	v_exp_f32_e32 v50, v50                                     // 0000000068BC: 7E644132
	v_mfma_f32_16x16x16_f16 v[76:79], v[96:97], a[116:117], v[76:79]// 0000000068C0: D3CD004C 1532E960
	ds_read_b64 v[140:141], v19 offset:28416                   // 0000000068C8: D8EC6F00 8C000013
	ds_read_b64 v[142:143], v19 offset:30464                   // 0000000068D0: D8EC7700 8E000013
	v_mfma_f32_16x16x16_f16 v[76:79], v[98:99], a[118:119], v[76:79]// 0000000068D8: D3CD004C 1532ED62
	v_exp_f32_e32 v51, v51                                     // 0000000068E0: 7E664133
	v_mfma_f32_16x16x16_f16 v[76:79], v[100:101], a[120:121], v[76:79]// 0000000068E4: D3CD004C 1532F164
	v_exp_f32_e32 v52, v52                                     // 0000000068EC: 7E684134
	v_mfma_f32_16x16x16_f16 v[76:79], v[102:103], a[122:123], v[76:79]// 0000000068F0: D3CD004C 1532F566
	v_exp_f32_e32 v53, v53                                     // 0000000068F8: 7E6A4135
	v_mfma_f32_16x16x16_f16 v[76:79], v[104:105], a[124:125], v[76:79]// 0000000068FC: D3CD004C 1532F968
	v_exp_f32_e32 v54, v54                                     // 000000006904: 7E6C4136
	v_mfma_f32_16x16x16_f16 v[76:79], v[106:107], a[126:127], v[76:79]// 000000006908: D3CD004C 1532FD6A
	v_exp_f32_e32 v55, v55                                     // 000000006910: 7E6E4137
	v_mfma_f32_16x16x16_f16 v[80:83], v[92:93], a[128:129], 0  // 000000006914: D3CD0050 1203015C
	v_exp_f32_e32 v56, v56                                     // 00000000691C: 7E704138
	v_mfma_f32_16x16x16_f16 v[80:83], v[94:95], a[130:131], v[80:83]// 000000006920: D3CD0050 1543055E
	v_exp_f32_e32 v57, v57                                     // 000000006928: 7E724139
	v_mfma_f32_16x16x16_f16 v[80:83], v[96:97], a[132:133], v[80:83]// 00000000692C: D3CD0050 15430960
	v_exp_f32_e32 v58, v58                                     // 000000006934: 7E74413A
	v_mfma_f32_16x16x16_f16 v[80:83], v[98:99], a[134:135], v[80:83]// 000000006938: D3CD0050 15430D62
	v_exp_f32_e32 v59, v59                                     // 000000006940: 7E76413B
	v_mfma_f32_16x16x16_f16 v[80:83], v[100:101], a[136:137], v[80:83]// 000000006944: D3CD0050 15431164
	v_cvt_pkrtz_f16_f32 v144, v48, v49                         // 00000000694C: D2960090 00026330
	v_cvt_pkrtz_f16_f32 v145, v50, v51                         // 000000006954: D2960091 00026732
	v_cvt_pkrtz_f16_f32 v146, v52, v53                         // 00000000695C: D2960092 00026B34
	v_mfma_f32_16x16x16_f16 v[80:83], v[102:103], a[138:139], v[80:83]// 000000006964: D3CD0050 15431566
	v_cvt_pkrtz_f16_f32 v147, v54, v55                         // 00000000696C: D2960093 00026F36
	v_cvt_pkrtz_f16_f32 v148, v56, v57                         // 000000006974: D2960094 00027338
	v_cvt_pkrtz_f16_f32 v149, v58, v59                         // 00000000697C: D2960095 0002773A
	v_mfma_f32_16x16x16_f16 v[80:83], v[104:105], a[140:141], v[80:83]// 000000006984: D3CD0050 15431968
	v_add_u32_e32 v7, s66, v7                                  // 00000000698C: 680E0E42
	v_add_u32_e32 v8, s66, v8                                  // 000000006990: 68101042
	v_mfma_f32_16x16x16_f16 v[80:83], v[106:107], a[142:143], v[80:83]// 000000006994: D3CD0050 15431D6A
	s_waitcnt lgkmcnt(0)                                       // 00000000699C: BF8CC07F
	s_barrier                                                  // 0000000069A0: BF8A0000
	v_mfma_f32_16x16x16_f16 v[152:155], v[108:109], v[144:145], v[152:155]// 0000000069A4: D3CD0098 0663216C
	v_subrev_f32_dpp v72, v150, v72 quad_perm:[0,0,0,0] row_mask:0xf bank_mask:0xf// 0000000069AC: 069090FA FF000096
	v_subrev_f32_dpp v73, v150, v73 quad_perm:[1,1,1,1] row_mask:0xf bank_mask:0xf// 0000000069B4: 069292FA FF005596
	v_subrev_f32_dpp v74, v150, v74 quad_perm:[2,2,2,2] row_mask:0xf bank_mask:0xf// 0000000069BC: 069494FA FF00AA96
	v_mfma_f32_16x16x16_f16 v[156:159], v[110:111], v[144:145], v[156:159]// 0000000069C4: D3CD009C 0673216E
	v_subrev_f32_dpp v75, v150, v75 quad_perm:[3,3,3,3] row_mask:0xf bank_mask:0xf// 0000000069CC: 069696FA FF00FF96
	v_subrev_f32_dpp v76, v150, v76 quad_perm:[0,0,0,0] row_mask:0xf bank_mask:0xf// 0000000069D4: 069898FA FF000096
	v_subrev_f32_dpp v77, v150, v77 quad_perm:[1,1,1,1] row_mask:0xf bank_mask:0xf// 0000000069DC: 069A9AFA FF005596
	v_mfma_f32_16x16x16_f16 v[160:163], v[112:113], v[144:145], v[160:163]// 0000000069E4: D3CD00A0 06832170
	v_mul_f32_e32 v72, v48, v72                                // 0000000069EC: 0A909130
	v_mul_f32_e32 v73, v49, v73                                // 0000000069F0: 0A929331
	v_mul_f32_e32 v74, v50, v74                                // 0000000069F4: 0A949532
	v_mfma_f32_16x16x16_f16 v[164:167], v[114:115], v[144:145], v[164:167]// 0000000069F8: D3CD00A4 06932172
	v_mul_f32_e32 v75, v51, v75                                // 000000006A00: 0A969733
	v_mul_f32_e32 v76, v52, v76                                // 000000006A04: 0A989934
	v_mul_f32_e32 v77, v53, v77                                // 000000006A08: 0A9A9B35
	v_mfma_f32_16x16x16_f16 v[168:171], v[116:117], v[144:145], v[168:171]// 000000006A0C: D3CD00A8 06A32174
	v_cvt_pkrtz_f16_f32 v72, v72, v73                          // 000000006A14: D2960048 00029348
	v_cvt_pkrtz_f16_f32 v73, v74, v75                          // 000000006A1C: D2960049 0002974A
	v_cvt_pkrtz_f16_f32 v74, v76, v77                          // 000000006A24: D296004A 00029B4C
	v_mfma_f32_16x16x16_f16 v[172:175], v[118:119], v[144:145], v[172:175]// 000000006A2C: D3CD00AC 06B32176
	v_mov_b32_dpp v16, v72 quad_perm:[1,0,3,2] row_mask:0xf bank_mask:0xf// 000000006A34: 7E2002FA FF00B148
	v_perm_b32 v48, v16, v72, v15                              // 000000006A3C: D1ED0030 043E9110
	v_mov_b32_dpp v16, v73 quad_perm:[1,0,3,2] row_mask:0xf bank_mask:0xf// 000000006A44: 7E2002FA FF00B149
	v_mfma_f32_16x16x16_f16 v[176:179], v[120:121], v[144:145], v[176:179]// 000000006A4C: D3CD00B0 06C32178
	v_perm_b32 v49, v16, v73, v15                              // 000000006A54: D1ED0031 043E9310
	v_mov_b32_dpp v16, v74 quad_perm:[1,0,3,2] row_mask:0xf bank_mask:0xf// 000000006A5C: 7E2002FA FF00B14A
	v_perm_b32 v50, v16, v74, v15                              // 000000006A64: D1ED0032 043E9510
	v_mfma_f32_16x16x16_f16 v[180:183], v[122:123], v[144:145], v[180:183]// 000000006A6C: D3CD00B4 06D3217A
	ds_write_b32 v18, v48 offset:17408                         // 000000006A74: D81A4400 00003012
	v_mfma_f32_16x16x16_f16 v[184:187], v[108:109], v[146:147], v[184:187]// 000000006A7C: D3CD00B8 06E3256C
	v_subrev_f32_dpp v78, v150, v78 quad_perm:[2,2,2,2] row_mask:0xf bank_mask:0xf// 000000006A84: 069C9CFA FF00AA96
	v_subrev_f32_dpp v79, v150, v79 quad_perm:[3,3,3,3] row_mask:0xf bank_mask:0xf// 000000006A8C: 069E9EFA FF00FF96
	v_subrev_f32_dpp v80, v150, v80 quad_perm:[0,0,0,0] row_mask:0xf bank_mask:0xf// 000000006A94: 06A0A0FA FF000096
	v_mfma_f32_16x16x16_f16 v[188:191], v[110:111], v[146:147], v[188:191]// 000000006A9C: D3CD00BC 06F3256E
	ds_write_b32 v18, v49 offset:17952                         // 000000006AA4: D81A4620 00003112
	v_mfma_f32_16x16x16_f16 v[192:195], v[112:113], v[146:147], v[192:195]// 000000006AAC: D3CD00C0 07032570
	v_subrev_f32_dpp v81, v150, v81 quad_perm:[1,1,1,1] row_mask:0xf bank_mask:0xf// 000000006AB4: 06A2A2FA FF005596
	v_subrev_f32_dpp v82, v150, v82 quad_perm:[2,2,2,2] row_mask:0xf bank_mask:0xf// 000000006ABC: 06A4A4FA FF00AA96
	v_subrev_f32_dpp v83, v150, v83 quad_perm:[3,3,3,3] row_mask:0xf bank_mask:0xf// 000000006AC4: 06A6A6FA FF00FF96
	v_mfma_f32_16x16x16_f16 v[196:199], v[114:115], v[146:147], v[196:199]// 000000006ACC: D3CD00C4 07132572
	ds_write_b32 v18, v50 offset:19712                         // 000000006AD4: D81A4D00 00003212
	v_mfma_f32_16x16x16_f16 v[200:203], v[116:117], v[146:147], v[200:203]// 000000006ADC: D3CD00C8 07232574
	v_mul_f32_e32 v78, v54, v78                                // 000000006AE4: 0A9C9D36
	v_mul_f32_e32 v79, v55, v79                                // 000000006AE8: 0A9E9F37
	v_mul_f32_e32 v80, v56, v80                                // 000000006AEC: 0AA0A138
	v_mfma_f32_16x16x16_f16 v[204:207], v[118:119], v[146:147], v[204:207]// 000000006AF0: D3CD00CC 07332576
	v_mul_f32_e32 v81, v57, v81                                // 000000006AF8: 0AA2A339
	v_mul_f32_e32 v82, v58, v82                                // 000000006AFC: 0AA4A53A
	v_mul_f32_e32 v83, v59, v83                                // 000000006B00: 0AA6A73B
	v_mfma_f32_16x16x16_f16 v[208:211], v[120:121], v[146:147], v[208:211]// 000000006B04: D3CD00D0 07432578
	v_cvt_pkrtz_f16_f32 v75, v78, v79                          // 000000006B0C: D296004B 00029F4E
	v_cvt_pkrtz_f16_f32 v76, v80, v81                          // 000000006B14: D296004C 0002A350
	v_cvt_pkrtz_f16_f32 v77, v82, v83                          // 000000006B1C: D296004D 0002A752
	v_mfma_f32_16x16x16_f16 v[212:215], v[122:123], v[146:147], v[212:215]// 000000006B24: D3CD00D4 0753257A
	v_mov_b32_dpp v16, v75 quad_perm:[1,0,3,2] row_mask:0xf bank_mask:0xf// 000000006B2C: 7E2002FA FF00B14B
	v_perm_b32 v51, v16, v75, v15                              // 000000006B34: D1ED0033 043E9710
	v_mov_b32_dpp v16, v76 quad_perm:[1,0,3,2] row_mask:0xf bank_mask:0xf// 000000006B3C: 7E2002FA FF00B14C
	v_mfma_f32_16x16x16_f16 v[216:219], v[108:109], v[148:149], v[216:219]// 000000006B44: D3CD00D8 0763296C
	v_perm_b32 v52, v16, v76, v15                              // 000000006B4C: D1ED0034 043E9910
	v_mov_b32_dpp v16, v77 quad_perm:[1,0,3,2] row_mask:0xf bank_mask:0xf// 000000006B54: 7E2002FA FF00B14D
	v_perm_b32 v53, v16, v77, v15                              // 000000006B5C: D1ED0035 043E9B10
	v_mfma_f32_16x16x16_f16 v[220:223], v[110:111], v[148:149], v[220:223]// 000000006B64: D3CD00DC 0773296E
	ds_write_b32 v18, v51 offset:20256                         // 000000006B6C: D81A4F20 00003312
	v_mfma_f32_16x16x16_f16 v[224:227], v[112:113], v[148:149], v[224:227]// 000000006B74: D3CD00E0 07832970
	v_mfma_f32_16x16x16_f16 v[228:231], v[114:115], v[148:149], v[228:231]// 000000006B7C: D3CD00E4 07932972
	ds_write_b32 v18, v52 offset:22016                         // 000000006B84: D81A5600 00003412
	ds_write_b32 v18, v53 offset:22560                         // 000000006B8C: D81A5820 00003512
	v_mfma_f32_16x16x16_f16 v[232:235], v[116:117], v[148:149], v[232:235]// 000000006B94: D3CD00E8 07A32974
	v_mfma_f32_16x16x16_f16 v[236:239], v[118:119], v[148:149], v[236:239]// 000000006B9C: D3CD00EC 07B32976
	ds_write_b32 v13, v84 offset:4352                          // 000000006BA4: D81A1100 0000540D
	ds_write_b32 v13, v85 offset:5408                          // 000000006BAC: D81A1520 0000550D
	v_mfma_f32_16x16x16_f16 v[240:243], v[120:121], v[148:149], v[240:243]// 000000006BB4: D3CD00F0 07C32978
	s_nop 0                                                    // 000000006BBC: BF800000
	s_nop 0                                                    // 000000006BC0: BF800000
	s_nop 0                                                    // 000000006BC4: BF800000
	v_mfma_f32_16x16x16_f16 v[244:247], v[122:123], v[148:149], v[244:247]// 000000006BC8: D3CD00F4 07D3297A
	ds_write_b32 v13, v86 offset:4480                          // 000000006BD0: D81A1180 0000560D
	ds_write_b32 v13, v87 offset:5536                          // 000000006BD8: D81A15A0 0000570D
	s_barrier                                                  // 000000006BE0: BF8A0000
	v_mfma_f32_16x16x16_f16 a[160:163], a[144:145], v[72:73], a[160:163]// 000000006BE4: D3CD80A0 0E829190
	buffer_atomic_add_f32 v136, v7, s[32:35], 0 offen          // 000000006BEC: E1341000 80088807
	v_mfma_f32_16x16x16_f16 a[164:167], a[146:147], v[72:73], a[164:167]// 000000006BF4: D3CD80A4 0E929192
	ds_read_b32 v124, v21 offset:51200                         // 000000006BFC: D86CC800 7C000015
	ds_read_b32 v150, v21 offset:51456                         // 000000006C04: D86CC900 96000015
	v_mfma_f32_16x16x16_f16 a[168:171], a[148:149], v[72:73], a[168:171]// 000000006C0C: D3CD80A8 0EA29194
	s_waitcnt lgkmcnt(6)                                       // 000000006C14: BF8CC67F
	s_barrier                                                  // 000000006C18: BF8A0000
	v_mfma_f32_16x16x16_f16 a[172:175], a[150:151], v[72:73], a[172:175]// 000000006C1C: D3CD80AC 0EB29196
	ds_read_b128 v[48:51], v17 offset:17408                    // 000000006C24: D9FE4400 30000011
	v_mfma_f32_16x16x16_f16 a[176:179], a[152:153], v[72:73], a[176:179]// 000000006C2C: D3CD80B0 0EC29198
	v_mfma_f32_16x16x16_f16 a[180:183], a[154:155], v[72:73], a[180:183]// 000000006C34: D3CD80B4 0ED2919A
	ds_read_b128 v[52:55], v17 offset:18560                    // 000000006C3C: D9FE4880 34000011
	v_mfma_f32_16x16x16_f16 a[184:187], a[156:157], v[72:73], a[184:187]// 000000006C44: D3CD80B8 0EE2919C
	buffer_atomic_add_f32 v137, v8, s[32:35], 0 offen          // 000000006C4C: E1341000 80088908
	v_mfma_f32_16x16x16_f16 a[188:191], a[158:159], v[72:73], a[188:191]// 000000006C54: D3CD80BC 0EF2919E
	ds_read_b128 v[56:59], v17 offset:19712                    // 000000006C5C: D9FE4D00 38000011
	v_mfma_f32_16x16x16_f16 a[192:195], a[144:145], v[74:75], a[192:195]// 000000006C64: D3CD80C0 0F029590
	v_mfma_f32_16x16x16_f16 a[196:199], a[146:147], v[74:75], a[196:199]// 000000006C6C: D3CD80C4 0F129592
	ds_read_b128 v[60:63], v17 offset:20864                    // 000000006C74: D9FE5180 3C000011
	v_mfma_f32_16x16x16_f16 a[200:203], a[148:149], v[74:75], a[200:203]// 000000006C7C: D3CD80C8 0F229594
	v_mfma_f32_16x16x16_f16 a[204:207], a[150:151], v[74:75], a[204:207]// 000000006C84: D3CD80CC 0F329596
	ds_read_b128 v[64:67], v17 offset:22016                    // 000000006C8C: D9FE5600 40000011
	v_mfma_f32_16x16x16_f16 a[208:211], a[152:153], v[74:75], a[208:211]// 000000006C94: D3CD80D0 0F429598
	buffer_atomic_add_f32 v138, v7, s[32:35], 0 offen offset:128// 000000006C9C: E1341080 80088A07
	v_mfma_f32_16x16x16_f16 a[212:215], a[154:155], v[74:75], a[212:215]// 000000006CA4: D3CD80D4 0F52959A
	ds_read_b128 v[68:71], v17 offset:23168                    // 000000006CAC: D9FE5A80 44000011
	v_mfma_f32_16x16x16_f16 a[216:219], a[156:157], v[74:75], a[216:219]// 000000006CB4: D3CD80D8 0F62959C
	v_mfma_f32_16x16x16_f16 a[220:223], a[158:159], v[74:75], a[220:223]// 000000006CBC: D3CD80DC 0F72959E
	ds_write_b32 v13, v88 offset:13056                         // 000000006CC4: D81A3300 0000580D
	v_mfma_f32_16x16x16_f16 a[224:227], a[144:145], v[76:77], a[224:227]// 000000006CCC: D3CD80E0 0F829990
	v_mfma_f32_16x16x16_f16 a[228:231], a[146:147], v[76:77], a[228:231]// 000000006CD4: D3CD80E4 0F929992
	ds_write_b32 v13, v89 offset:14112                         // 000000006CDC: D81A3720 0000590D
	v_mfma_f32_16x16x16_f16 a[232:235], a[148:149], v[76:77], a[232:235]// 000000006CE4: D3CD80E8 0FA29994
	buffer_atomic_add_f32 v139, v8, s[32:35], 0 offen offset:128// 000000006CEC: E1341080 80088B08
	v_mfma_f32_16x16x16_f16 a[236:239], a[150:151], v[76:77], a[236:239]// 000000006CF4: D3CD80EC 0FB29996
	ds_write_b32 v13, v90 offset:13184                         // 000000006CFC: D81A3380 00005A0D
	v_mfma_f32_16x16x16_f16 a[240:243], a[152:153], v[76:77], a[240:243]// 000000006D04: D3CD80F0 0FC29998
	v_mfma_f32_16x16x16_f16 a[244:247], a[154:155], v[76:77], a[244:247]// 000000006D0C: D3CD80F4 0FD2999A
	ds_write_b32 v13, v91 offset:14240                         // 000000006D14: D81A37A0 00005B0D
	v_mfma_f32_16x16x16_f16 a[248:251], a[156:157], v[76:77], a[248:251]// 000000006D1C: D3CD80F8 0FE2999C
	v_mfma_f32_16x16x16_f16 a[252:255], a[158:159], v[76:77], a[252:255]// 000000006D24: D3CD80FC 0FF2999E
	s_waitcnt vmcnt(8) lgkmcnt(4)                              // 000000006D2C: BF8C0478
	s_barrier                                                  // 000000006D30: BF8A0000
	v_mfma_f32_16x16x16_f16 v[128:131], v[48:49], a[48:49], 0  // 000000006D34: D3CD0080 12026130
	v_mul_f32_e32 v124, s48, v124                              // 000000006D3C: 0AF8F830
	s_nop 0                                                    // 000000006D40: BF800000
	v_mfma_f32_16x16x16_f16 v[128:131], v[50:51], a[52:53], v[128:131]// 000000006D44: D3CD0080 16026932
	ds_read_b128 a[144:147], v10                               // 000000006D4C: DBFE0000 9000000A
	v_mov_b32_e32 v36, 0                                       // 000000006D54: 7E480280
	s_mov_b64 exec, s[86:87]                                   // 000000006D58: BEFE0156
	buffer_load_dword v36, v1, s[8:11], 0 idxen                // 000000006D5C: E0502000 80022401
	s_mov_b64 exec, s[84:85]                                   // 000000006D64: BEFE0154
	v_mfma_f32_16x16x16_f16 v[128:131], v[52:53], a[56:57], v[128:131]// 000000006D68: D3CD0080 16027134
	v_mfma_f32_16x16x16_f16 v[128:131], v[54:55], a[60:61], v[128:131]// 000000006D70: D3CD0080 16027936
	ds_read_b128 a[148:151], v10 offset:512                    // 000000006D78: DBFE0200 9400000A
	v_mov_b32_e32 v37, 0                                       // 000000006D80: 7E4A0280
	s_mov_b64 exec, s[86:87]                                   // 000000006D84: BEFE0156
	buffer_load_dword v37, v2, s[8:11], 0 idxen                // 000000006D88: E0502000 80022502
	s_mov_b64 exec, s[84:85]                                   // 000000006D90: BEFE0154
	v_mfma_f32_16x16x16_f16 v[128:131], v[56:57], a[64:65], v[128:131]// 000000006D94: D3CD0080 16028138
	v_perm_b32 v84, v33, v32, s63                              // 000000006D9C: D1ED0054 00FE4121
	v_perm_b32 v85, v33, v32, s64                              // 000000006DA4: D1ED0055 01024121
	v_mfma_f32_16x16x16_f16 v[128:131], v[58:59], a[68:69], v[128:131]// 000000006DAC: D3CD0080 1602893A
	ds_read_b128 a[152:155], v10 offset:2176                   // 000000006DB4: DBFE0880 9800000A
	v_mov_b32_e32 v38, 0                                       // 000000006DBC: 7E4C0280
	s_mov_b64 exec, s[86:87]                                   // 000000006DC0: BEFE0156
	buffer_load_dword v38, v3, s[8:11], 0 idxen                // 000000006DC4: E0502000 80022603
	s_mov_b64 exec, s[84:85]                                   // 000000006DCC: BEFE0154
	v_mfma_f32_16x16x16_f16 v[128:131], v[60:61], a[72:73], v[128:131]// 000000006DD0: D3CD0080 1602913C
	v_perm_b32 v86, v35, v34, s63                              // 000000006DD8: D1ED0056 00FE4523
	v_perm_b32 v87, v35, v34, s64                              // 000000006DE0: D1ED0057 01024523
	v_mfma_f32_16x16x16_f16 v[128:131], v[62:63], a[76:77], v[128:131]// 000000006DE8: D3CD0080 1602993E
	ds_read_b128 a[156:159], v10 offset:2688                   // 000000006DF0: DBFE0A80 9C00000A
	v_mov_b32_e32 v39, 0                                       // 000000006DF8: 7E4E0280
	s_mov_b64 exec, s[86:87]                                   // 000000006DFC: BEFE0156
	buffer_load_dword v39, v4, s[8:11], 0 idxen                // 000000006E00: E0502000 80022704
	s_mov_b64 exec, s[84:85]                                   // 000000006E08: BEFE0154
	v_mfma_f32_16x16x16_f16 v[128:131], v[64:65], a[80:81], v[128:131]// 000000006E0C: D3CD0080 1602A140
	v_perm_b32 v88, v41, v40, s63                              // 000000006E14: D1ED0058 00FE5129
	v_perm_b32 v89, v41, v40, s64                              // 000000006E1C: D1ED0059 01025129
	v_mfma_f32_16x16x16_f16 v[128:131], v[66:67], a[84:85], v[128:131]// 000000006E24: D3CD0080 1602A942
	ds_read_b128 v[92:95], v10 offset:8704                     // 000000006E2C: D9FE2200 5C00000A
	v_mov_b32_e32 v44, 0                                       // 000000006E34: 7E580280
	s_mov_b64 exec, s[86:87]                                   // 000000006E38: BEFE0156
	buffer_load_dword v44, v248, s[20:23], 0 idxen             // 000000006E3C: E0502000 80052CF8
	s_mov_b64 exec, s[84:85]                                   // 000000006E44: BEFE0154
	v_mfma_f32_16x16x16_f16 v[128:131], v[68:69], a[88:89], v[128:131]// 000000006E48: D3CD0080 1602B144
	v_perm_b32 v90, v43, v42, s63                              // 000000006E50: D1ED005A 00FE552B
	v_perm_b32 v91, v43, v42, s64                              // 000000006E58: D1ED005B 0102552B
	v_mfma_f32_16x16x16_f16 v[128:131], v[70:71], a[92:93], v[128:131]// 000000006E60: D3CD0080 1602B946
	ds_read_b128 v[96:99], v10 offset:9216                     // 000000006E68: D9FE2400 6000000A
	v_mov_b32_e32 v45, 0                                       // 000000006E70: 7E5A0280
	s_mov_b64 exec, s[86:87]                                   // 000000006E74: BEFE0156
	buffer_load_dword v45, v249, s[20:23], 0 idxen             // 000000006E78: E0502000 80052DF9
	s_mov_b64 exec, s[84:85]                                   // 000000006E80: BEFE0154
	v_mfma_f32_16x16x16_f16 v[132:135], v[48:49], a[50:51], 0  // 000000006E84: D3CD0084 12026530
	v_mov_b32_dpp v127, v124 quad_perm:[3,3,3,3] row_mask:0xf bank_mask:0xf// 000000006E8C: 7EFE02FA FF00FF7C
	v_mov_b32_dpp v126, v124 quad_perm:[2,2,2,2] row_mask:0xf bank_mask:0xf// 000000006E94: 7EFC02FA FF00AA7C
	v_mfma_f32_16x16x16_f16 v[132:135], v[50:51], a[54:55], v[132:135]// 000000006E9C: D3CD0084 16126D32
	ds_read_b128 v[100:103], v10 offset:10880                  // 000000006EA4: D9FE2A80 6400000A
	v_mov_b32_e32 v46, 0                                       // 000000006EAC: 7E5C0280
	s_mov_b64 exec, s[86:87]                                   // 000000006EB0: BEFE0156
	buffer_load_dword v46, v250, s[20:23], 0 idxen             // 000000006EB4: E0502000 80052EFA
	s_mov_b64 exec, s[84:85]                                   // 000000006EBC: BEFE0154
	v_mfma_f32_16x16x16_f16 v[132:135], v[52:53], a[58:59], v[132:135]// 000000006EC0: D3CD0084 16127534
	v_mov_b32_dpp v125, v124 quad_perm:[1,1,1,1] row_mask:0xf bank_mask:0xf// 000000006EC8: 7EFA02FA FF00557C
	v_mov_b32_dpp v124, v124 quad_perm:[0,0,0,0] row_mask:0xf bank_mask:0xf// 000000006ED0: 7EF802FA FF00007C
	s_add_u32 s60, 64, s59                                     // 000000006ED8: 803C3BC0
	v_mfma_f32_16x16x16_f16 v[132:135], v[54:55], a[62:63], v[132:135]// 000000006EDC: D3CD0084 16127D36
	ds_read_b128 v[104:107], v10 offset:11392                  // 000000006EE4: D9FE2C80 6800000A
	v_mov_b32_e32 v47, 0                                       // 000000006EEC: 7E5E0280
	s_mov_b64 exec, s[86:87]                                   // 000000006EF0: BEFE0156
	buffer_load_dword v47, v251, s[20:23], 0 idxen             // 000000006EF4: E0502000 80052FFB
	s_mov_b64 exec, s[84:85]                                   // 000000006EFC: BEFE0154
	v_mfma_f32_16x16x16_f16 v[132:135], v[56:57], a[66:67], v[132:135]// 000000006F00: D3CD0084 16128538
	s_cmp_lt_u32 s60, s58                                      // 000000006F08: BF0A3A3C
	s_cselect_b32 s68, s68, 0                                  // 000000006F0C: 85448044
	s_cselect_b32 s95, s95, 0                                  // 000000006F10: 855F805F
	s_cselect_b32 s69, s69, 0                                  // 000000006F14: 85458045
	v_mfma_f32_16x16x16_f16 v[132:135], v[58:59], a[70:71], v[132:135]// 000000006F18: D3CD0084 16128D3A
	buffer_load_dword v9, s[24:27], 0 idxen lds                // 000000006F20: E0512000 80060009
	v_mfma_f32_16x16x16_f16 v[132:135], v[60:61], a[74:75], v[132:135]// 000000006F28: D3CD0084 1612953C
	v_add_u32_e32 v1, s68, v1                                  // 000000006F30: 68020244
	v_add_u32_e32 v2, s68, v2                                  // 000000006F34: 68040444
	v_add_u32_e32 v3, s68, v3                                  // 000000006F38: 68060644
	v_add_u32_e32 v4, s68, v4                                  // 000000006F3C: 68080844
	v_mfma_f32_16x16x16_f16 v[132:135], v[62:63], a[78:79], v[132:135]// 000000006F40: D3CD0084 16129D3E
	v_add_u32_e32 v248, s95, v248                              // 000000006F48: 69F1F05F
	v_add_u32_e32 v249, s95, v249                              // 000000006F4C: 69F3F25F
	v_add_u32_e32 v250, s95, v250                              // 000000006F50: 69F5F45F
	v_add_u32_e32 v251, s95, v251                              // 000000006F54: 69F7F65F
	v_mfma_f32_16x16x16_f16 v[132:135], v[64:65], a[82:83], v[132:135]// 000000006F58: D3CD0084 1612A540
	s_mov_b32 m0, s74                                          // 000000006F60: BEFC004A
	v_add_u32_e32 v9, s69, v9                                  // 000000006F64: 68121245
	v_mfma_f32_16x16x16_f16 v[132:135], v[66:67], a[86:87], v[132:135]// 000000006F68: D3CD0084 1612AD42
	s_cmp_ge_u32 s59, 16                                       // 000000006F70: BF09903B
	s_cselect_b32 s66, s67, s66                                // 000000006F74: 85424243
	v_mfma_f32_16x16x16_f16 v[132:135], v[68:69], a[90:91], v[132:135]// 000000006F78: D3CD0084 1612B544
	s_addk_i32 s59, 0x10                                       // 000000006F80: B73B0010
	s_nop 0                                                    // 000000006F84: BF800000
	s_cmp_lt_i32 s59, s58                                      // 000000006F88: BF043A3B
	v_mfma_f32_16x16x16_f16 v[132:135], v[70:71], a[94:95], v[132:135]// 000000006F8C: D3CD0084 1612BD46
	s_cbranch_scc0 label_0F16                                  // 000000006F94: BF8402A6
	s_waitcnt lgkmcnt(0)                                       // 000000006F98: BF8CC07F
	s_barrier                                                  // 000000006F9C: BF8A0000
	v_mfma_f32_16x16x16_f16 v[48:51], a[144:145], a[0:1], 0    // 000000006FA0: D3CD0030 1A020190
	ds_write_b32 v11, v40 offset:8704                          // 000000006FA8: D81A2200 0000280B
	ds_write_b32 v11, v41 offset:9760                          // 000000006FB0: D81A2620 0000290B
	v_mfma_f32_16x16x16_f16 v[48:51], a[146:147], a[2:3], v[48:51]// 000000006FB8: D3CD0030 1CC20592
	v_mul_f32_e32 v128, s47, v128                              // 000000006FC0: 0B01002F
	v_mul_f32_e32 v129, s47, v129                              // 000000006FC4: 0B03022F
	v_mfma_f32_16x16x16_f16 v[48:51], a[148:149], a[4:5], v[48:51]// 000000006FC8: D3CD0030 1CC20994
	ds_write_b32 v11, v42 offset:8832                          // 000000006FD0: D81A2280 00002A0B
	ds_write_b32 v11, v43 offset:9888                          // 000000006FD8: D81A26A0 00002B0B
	v_mfma_f32_16x16x16_f16 v[48:51], a[150:151], a[6:7], v[48:51]// 000000006FE0: D3CD0030 1CC20D96
	v_mul_f32_e32 v130, s47, v130                              // 000000006FE8: 0B05042F
	v_mul_f32_e32 v131, s47, v131                              // 000000006FEC: 0B07062F
	v_mfma_f32_16x16x16_f16 v[48:51], a[152:153], a[8:9], v[48:51]// 000000006FF0: D3CD0030 1CC21198
	ds_write_b64 v20, v[128:129] offset:24320                  // 000000006FF8: D89A5F00 00008014
	v_mfma_f32_16x16x16_f16 v[48:51], a[154:155], a[10:11], v[48:51]// 000000007000: D3CD0030 1CC2159A
	v_mul_f32_e32 v132, s47, v132                              // 000000007008: 0B09082F
	v_mul_f32_e32 v133, s47, v133                              // 00000000700C: 0B0B0A2F
	v_mfma_f32_16x16x16_f16 v[48:51], a[156:157], a[12:13], v[48:51]// 000000007010: D3CD0030 1CC2199C
	ds_write_b64 v20, v[130:131] offset:24832                  // 000000007018: D89A6100 00008214
	v_mfma_f32_16x16x16_f16 v[48:51], a[158:159], a[14:15], v[48:51]// 000000007020: D3CD0030 1CC21D9E
	v_mul_f32_e32 v134, s47, v134                              // 000000007028: 0B0D0C2F
	v_mul_f32_e32 v135, s47, v135                              // 00000000702C: 0B0F0E2F
	v_mfma_f32_16x16x16_f16 v[52:55], a[144:145], a[16:17], 0  // 000000007030: D3CD0034 1A022190
	ds_write_b64 v20, v[132:133] offset:25344                  // 000000007038: D89A6300 00008414
	v_mfma_f32_16x16x16_f16 v[52:55], a[146:147], a[18:19], v[52:55]// 000000007040: D3CD0034 1CD22592
	buffer_atomic_add_f32 v140, v7, s[32:35], 0 offen offset:256// 000000007048: E1341100 80088C07
	v_mfma_f32_16x16x16_f16 v[52:55], a[148:149], a[20:21], v[52:55]// 000000007050: D3CD0034 1CD22994
	ds_write_b64 v20, v[134:135] offset:25856                  // 000000007058: D89A6500 00008614
	v_mfma_f32_16x16x16_f16 v[52:55], a[150:151], a[22:23], v[52:55]// 000000007060: D3CD0034 1CD22D96
	v_mfma_f32_16x16x16_f16 v[52:55], a[152:153], a[24:25], v[52:55]// 000000007068: D3CD0034 1CD23198
	ds_read_b128 v[108:111], v12 offset:13056                  // 000000007070: D9FE3300 6C00000C
	ds_write_b32 v11, v32                                      // 000000007078: D81A0000 0000200B
	v_mfma_f32_16x16x16_f16 v[52:55], a[154:155], a[26:27], v[52:55]// 000000007080: D3CD0034 1CD2359A
	buffer_atomic_add_f32 v141, v8, s[32:35], 0 offen offset:256// 000000007088: E1341100 80088D08
	v_mfma_f32_16x16x16_f16 v[52:55], a[156:157], a[28:29], v[52:55]// 000000007090: D3CD0034 1CD2399C
	v_mfma_f32_16x16x16_f16 v[52:55], a[158:159], a[30:31], v[52:55]// 000000007098: D3CD0034 1CD23D9E
	ds_read_b128 v[112:115], v12 offset:13568                  // 0000000070A0: D9FE3500 7000000C
	ds_write_b32 v11, v33 offset:1056                          // 0000000070A8: D81A0420 0000210B
	v_mfma_f32_16x16x16_f16 v[56:59], a[144:145], a[32:33], 0  // 0000000070B0: D3CD0038 1A024190
	buffer_atomic_add_f32 v142, v7, s[32:35], 0 offen offset:384// 0000000070B8: E1341180 80088E07
	v_mfma_f32_16x16x16_f16 v[56:59], a[146:147], a[34:35], v[56:59]// 0000000070C0: D3CD0038 1CE24592
	v_mfma_f32_16x16x16_f16 v[56:59], a[148:149], a[36:37], v[56:59]// 0000000070C8: D3CD0038 1CE24994
	ds_read_b128 v[116:119], v12 offset:15232                  // 0000000070D0: D9FE3B80 7400000C
	ds_write_b32 v11, v34 offset:128                           // 0000000070D8: D81A0080 0000220B
	v_mfma_f32_16x16x16_f16 v[56:59], a[150:151], a[38:39], v[56:59]// 0000000070E0: D3CD0038 1CE24D96
	v_mfma_f32_16x16x16_f16 v[56:59], a[152:153], a[40:41], v[56:59]// 0000000070E8: D3CD0038 1CE25198
	buffer_atomic_add_f32 v143, v8, s[32:35], 0 offen offset:384// 0000000070F0: E1341180 80088F08
	v_mfma_f32_16x16x16_f16 v[56:59], a[154:155], a[42:43], v[56:59]// 0000000070F8: D3CD0038 1CE2559A
	ds_read_b128 v[120:123], v12 offset:15744                  // 000000007100: D9FE3D80 7800000C
	ds_write_b32 v11, v35 offset:1184                          // 000000007108: D81A04A0 0000230B
	v_mfma_f32_16x16x16_f16 v[56:59], a[156:157], a[44:45], v[56:59]// 000000007110: D3CD0038 1CE2599C
	v_mfma_f32_16x16x16_f16 v[56:59], a[158:159], a[46:47], v[56:59]// 000000007118: D3CD0038 1CE25D9E
	s_cmp_lt_i32 s97, 0xc0                                     // 000000007120: BF04FF61 000000C0
	s_cbranch_scc0 label_0D22                                  // 000000007128: BF84004D
	s_cmp_le_i32 s97, 64                                       // 00000000712C: BF05C061
	s_cbranch_scc1 label_0CD9                                  // 000000007130: BF850007
	s_cmp_le_i32 s97, 0x80                                     // 000000007134: BF05FF61 00000080
	s_cbranch_scc1 label_0CF1                                  // 00000000713C: BF850017
	s_cmp_lt_i32 s97, 0xc0                                     // 000000007140: BF04FF61 000000C0
	s_cbranch_scc1 label_0D09                                  // 000000007148: BF85002C
	s_branch label_0D22                                        // 00000000714C: BF820044

0000000000007150 <label_0CD9>:
	s_mov_b32 s60, 0                                           // 000000007150: BEBC0080
	v_and_b32_e32 v28, 15, v0                                  // 000000007154: 2638008F
	v_add_u32_e64 v28, v28, s60                                // 000000007158: D134001C 0000791C
	v_mul_i32_i24_e64 v29, s46, 16                             // 000000007160: D106001D 0001202E
	v_add_u32_e32 v28, v28, v29                                // 000000007168: 68383B1C
	v_cmp_lt_u32_e64 s[60:61], v28, s97                        // 00000000716C: D0C9003C 0000C31C
	s_nop 1                                                    // 000000007174: BF800001
	v_cndmask_b32_e64 v48, v151, v48, s[60:61]                 // 000000007178: D1000030 00F26197
	v_cndmask_b32_e64 v49, v151, v49, s[60:61]                 // 000000007180: D1000031 00F26397
	v_cndmask_b32_e64 v50, v151, v50, s[60:61]                 // 000000007188: D1000032 00F26597
	v_cndmask_b32_e64 v51, v151, v51, s[60:61]                 // 000000007190: D1000033 00F26797
	s_branch label_0D04                                        // 000000007198: BF820013

000000000000719c <label_0CF1>:
	s_mov_b32 s60, 64                                          // 00000000719C: BEBC00C0
	v_and_b32_e32 v28, 15, v0                                  // 0000000071A0: 2638008F
	v_add_u32_e64 v28, v28, s60                                // 0000000071A4: D134001C 0000791C
	v_mul_i32_i24_e64 v29, s46, 16                             // 0000000071AC: D106001D 0001202E
	v_add_u32_e32 v28, v28, v29                                // 0000000071B4: 68383B1C
	v_cmp_lt_u32_e64 s[60:61], v28, s97                        // 0000000071B8: D0C9003C 0000C31C
	s_nop 1                                                    // 0000000071C0: BF800001
	v_cndmask_b32_e64 v52, v151, v52, s[60:61]                 // 0000000071C4: D1000034 00F26997
	v_cndmask_b32_e64 v53, v151, v53, s[60:61]                 // 0000000071CC: D1000035 00F26B97
	v_cndmask_b32_e64 v54, v151, v54, s[60:61]                 // 0000000071D4: D1000036 00F26D97
	v_cndmask_b32_e64 v55, v151, v55, s[60:61]                 // 0000000071DC: D1000037 00F26F97
	s_branch label_0D1D                                        // 0000000071E4: BF820019

00000000000071e8 <label_0D04>:
	v_mov_b32_e32 v52, v151                                    // 0000000071E8: 7E680397
	v_mov_b32_e32 v53, v151                                    // 0000000071EC: 7E6A0397
	v_mov_b32_e32 v54, v151                                    // 0000000071F0: 7E6C0397
	v_mov_b32_e32 v55, v151                                    // 0000000071F4: 7E6E0397
	s_branch label_0D1D                                        // 0000000071F8: BF820014

00000000000071fc <label_0D09>:
	s_mov_b32 s60, 0x80                                        // 0000000071FC: BEBC00FF 00000080
	v_and_b32_e32 v28, 15, v0                                  // 000000007204: 2638008F
	v_add_u32_e64 v28, v28, s60                                // 000000007208: D134001C 0000791C
	v_mul_i32_i24_e64 v29, s46, 16                             // 000000007210: D106001D 0001202E
	v_add_u32_e32 v28, v28, v29                                // 000000007218: 68383B1C
	v_cmp_lt_u32_e64 s[60:61], v28, s97                        // 00000000721C: D0C9003C 0000C31C
	s_nop 1                                                    // 000000007224: BF800001
	v_cndmask_b32_e64 v56, v151, v56, s[60:61]                 // 000000007228: D1000038 00F27197
	v_cndmask_b32_e64 v57, v151, v57, s[60:61]                 // 000000007230: D1000039 00F27397
	v_cndmask_b32_e64 v58, v151, v58, s[60:61]                 // 000000007238: D100003A 00F27597
	v_cndmask_b32_e64 v59, v151, v59, s[60:61]                 // 000000007240: D100003B 00F27797
	s_branch label_0D22                                        // 000000007248: BF820005

000000000000724c <label_0D1D>:
	v_mov_b32_e32 v56, v151                                    // 00000000724C: 7E700397
	v_mov_b32_e32 v57, v151                                    // 000000007250: 7E720397
	v_mov_b32_e32 v58, v151                                    // 000000007254: 7E740397
	v_mov_b32_e32 v59, v151                                    // 000000007258: 7E760397
	s_branch label_0D22                                        // 00000000725C: BF820000

0000000000007260 <label_0D22>:
	s_waitcnt lgkmcnt(8)                                       // 000000007260: BF8CC87F
	s_barrier                                                  // 000000007264: BF8A0000
	v_mfma_f32_16x16x16_f16 v[72:75], v[92:93], a[96:97], 0    // 000000007268: D3CD0048 1202C15C
	ds_read_b128 a[144:147], v12 offset:4352                   // 000000007270: DBFE1100 9000000C
	ds_read_b128 a[148:151], v12 offset:4864                   // 000000007278: DBFE1300 9400000C
	v_mfma_f32_16x16x16_f16 v[72:75], v[94:95], a[98:99], v[72:75]// 000000007280: D3CD0048 1522C55E
	v_fma_f32 v48, v48, s57, -v124                             // 000000007288: D1CB0030 85F07330
	v_fma_f32 v49, v49, s57, -v125                             // 000000007290: D1CB0031 85F47331
	v_fma_f32 v50, v50, s57, -v126                             // 000000007298: D1CB0032 85F87332
	v_mfma_f32_16x16x16_f16 v[72:75], v[96:97], a[100:101], v[72:75]// 0000000072A0: D3CD0048 1522C960
	v_fma_f32 v51, v51, s57, -v127                             // 0000000072A8: D1CB0033 85FC7333
	v_fma_f32 v52, v52, s57, -v124                             // 0000000072B0: D1CB0034 85F07334
	v_fma_f32 v53, v53, s57, -v125                             // 0000000072B8: D1CB0035 85F47335
	v_mfma_f32_16x16x16_f16 v[72:75], v[98:99], a[102:103], v[72:75]// 0000000072C0: D3CD0048 1522CD62
	v_fma_f32 v54, v54, s57, -v126                             // 0000000072C8: D1CB0036 85F87336
	v_fma_f32 v55, v55, s57, -v127                             // 0000000072D0: D1CB0037 85FC7337
	v_fma_f32 v56, v56, s57, -v124                             // 0000000072D8: D1CB0038 85F07338
	v_mfma_f32_16x16x16_f16 v[72:75], v[100:101], a[104:105], v[72:75]// 0000000072E0: D3CD0048 1522D164
	ds_read_b128 a[152:155], v12 offset:6528                   // 0000000072E8: DBFE1980 9800000C
	ds_read_b128 a[156:159], v12 offset:7040                   // 0000000072F0: DBFE1B80 9C00000C
	v_mfma_f32_16x16x16_f16 v[72:75], v[102:103], a[106:107], v[72:75]// 0000000072F8: D3CD0048 1522D566
	v_fma_f32 v57, v57, s57, -v125                             // 000000007300: D1CB0039 85F47339
	v_fma_f32 v58, v58, s57, -v126                             // 000000007308: D1CB003A 85F8733A
	v_fma_f32 v59, v59, s57, -v127                             // 000000007310: D1CB003B 85FC733B
	v_mfma_f32_16x16x16_f16 v[72:75], v[104:105], a[108:109], v[72:75]// 000000007318: D3CD0048 1522D968
	v_exp_f32_e32 v48, v48                                     // 000000007320: 7E604130
	v_mfma_f32_16x16x16_f16 v[72:75], v[106:107], a[110:111], v[72:75]// 000000007324: D3CD0048 1522DD6A
	v_exp_f32_e32 v49, v49                                     // 00000000732C: 7E624131
	v_mfma_f32_16x16x16_f16 v[76:79], v[92:93], a[112:113], 0  // 000000007330: D3CD004C 1202E15C
	ds_read_b64 v[136:137], v19 offset:24320                   // 000000007338: D8EC5F00 88000013
	ds_read_b64 v[138:139], v19 offset:26368                   // 000000007340: D8EC6700 8A000013
	v_mfma_f32_16x16x16_f16 v[76:79], v[94:95], a[114:115], v[76:79]// 000000007348: D3CD004C 1532E55E
	v_exp_f32_e32 v50, v50                                     // 000000007350: 7E644132
	v_mfma_f32_16x16x16_f16 v[76:79], v[96:97], a[116:117], v[76:79]// 000000007354: D3CD004C 1532E960
	ds_read_b64 v[140:141], v19 offset:28416                   // 00000000735C: D8EC6F00 8C000013
	ds_read_b64 v[142:143], v19 offset:30464                   // 000000007364: D8EC7700 8E000013
	v_mfma_f32_16x16x16_f16 v[76:79], v[98:99], a[118:119], v[76:79]// 00000000736C: D3CD004C 1532ED62
	v_exp_f32_e32 v51, v51                                     // 000000007374: 7E664133
	v_mfma_f32_16x16x16_f16 v[76:79], v[100:101], a[120:121], v[76:79]// 000000007378: D3CD004C 1532F164
	v_exp_f32_e32 v52, v52                                     // 000000007380: 7E684134
	v_mfma_f32_16x16x16_f16 v[76:79], v[102:103], a[122:123], v[76:79]// 000000007384: D3CD004C 1532F566
	v_exp_f32_e32 v53, v53                                     // 00000000738C: 7E6A4135
	v_mfma_f32_16x16x16_f16 v[76:79], v[104:105], a[124:125], v[76:79]// 000000007390: D3CD004C 1532F968
	v_exp_f32_e32 v54, v54                                     // 000000007398: 7E6C4136
	v_mfma_f32_16x16x16_f16 v[76:79], v[106:107], a[126:127], v[76:79]// 00000000739C: D3CD004C 1532FD6A
	v_exp_f32_e32 v55, v55                                     // 0000000073A4: 7E6E4137
	v_mfma_f32_16x16x16_f16 v[80:83], v[92:93], a[128:129], 0  // 0000000073A8: D3CD0050 1203015C
	v_exp_f32_e32 v56, v56                                     // 0000000073B0: 7E704138
	v_mfma_f32_16x16x16_f16 v[80:83], v[94:95], a[130:131], v[80:83]// 0000000073B4: D3CD0050 1543055E
	v_exp_f32_e32 v57, v57                                     // 0000000073BC: 7E724139
	v_mfma_f32_16x16x16_f16 v[80:83], v[96:97], a[132:133], v[80:83]// 0000000073C0: D3CD0050 15430960
	v_exp_f32_e32 v58, v58                                     // 0000000073C8: 7E74413A
	v_mfma_f32_16x16x16_f16 v[80:83], v[98:99], a[134:135], v[80:83]// 0000000073CC: D3CD0050 15430D62
	v_exp_f32_e32 v59, v59                                     // 0000000073D4: 7E76413B
	v_mfma_f32_16x16x16_f16 v[80:83], v[100:101], a[136:137], v[80:83]// 0000000073D8: D3CD0050 15431164
	v_cvt_pkrtz_f16_f32 v144, v48, v49                         // 0000000073E0: D2960090 00026330
	v_cvt_pkrtz_f16_f32 v145, v50, v51                         // 0000000073E8: D2960091 00026732
	v_cvt_pkrtz_f16_f32 v146, v52, v53                         // 0000000073F0: D2960092 00026B34
	v_mfma_f32_16x16x16_f16 v[80:83], v[102:103], a[138:139], v[80:83]// 0000000073F8: D3CD0050 15431566
	v_cvt_pkrtz_f16_f32 v147, v54, v55                         // 000000007400: D2960093 00026F36
	v_cvt_pkrtz_f16_f32 v148, v56, v57                         // 000000007408: D2960094 00027338
	v_cvt_pkrtz_f16_f32 v149, v58, v59                         // 000000007410: D2960095 0002773A
	v_mfma_f32_16x16x16_f16 v[80:83], v[104:105], a[140:141], v[80:83]// 000000007418: D3CD0050 15431968
	v_add_u32_e32 v7, s66, v7                                  // 000000007420: 680E0E42
	v_add_u32_e32 v8, s66, v8                                  // 000000007424: 68101042
	v_mfma_f32_16x16x16_f16 v[80:83], v[106:107], a[142:143], v[80:83]// 000000007428: D3CD0050 15431D6A
	s_waitcnt lgkmcnt(0)                                       // 000000007430: BF8CC07F
	s_barrier                                                  // 000000007434: BF8A0000
	v_mfma_f32_16x16x16_f16 v[152:155], v[108:109], v[144:145], v[152:155]// 000000007438: D3CD0098 0663216C
	v_subrev_f32_dpp v72, v150, v72 quad_perm:[0,0,0,0] row_mask:0xf bank_mask:0xf// 000000007440: 069090FA FF000096
	v_subrev_f32_dpp v73, v150, v73 quad_perm:[1,1,1,1] row_mask:0xf bank_mask:0xf// 000000007448: 069292FA FF005596
	v_subrev_f32_dpp v74, v150, v74 quad_perm:[2,2,2,2] row_mask:0xf bank_mask:0xf// 000000007450: 069494FA FF00AA96
	v_mfma_f32_16x16x16_f16 v[156:159], v[110:111], v[144:145], v[156:159]// 000000007458: D3CD009C 0673216E
	v_subrev_f32_dpp v75, v150, v75 quad_perm:[3,3,3,3] row_mask:0xf bank_mask:0xf// 000000007460: 069696FA FF00FF96
	v_subrev_f32_dpp v76, v150, v76 quad_perm:[0,0,0,0] row_mask:0xf bank_mask:0xf// 000000007468: 069898FA FF000096
	v_subrev_f32_dpp v77, v150, v77 quad_perm:[1,1,1,1] row_mask:0xf bank_mask:0xf// 000000007470: 069A9AFA FF005596
	v_mfma_f32_16x16x16_f16 v[160:163], v[112:113], v[144:145], v[160:163]// 000000007478: D3CD00A0 06832170
	v_mul_f32_e32 v72, v48, v72                                // 000000007480: 0A909130
	v_mul_f32_e32 v73, v49, v73                                // 000000007484: 0A929331
	v_mul_f32_e32 v74, v50, v74                                // 000000007488: 0A949532
	v_mfma_f32_16x16x16_f16 v[164:167], v[114:115], v[144:145], v[164:167]// 00000000748C: D3CD00A4 06932172
	v_mul_f32_e32 v75, v51, v75                                // 000000007494: 0A969733
	v_mul_f32_e32 v76, v52, v76                                // 000000007498: 0A989934
	v_mul_f32_e32 v77, v53, v77                                // 00000000749C: 0A9A9B35
	v_mfma_f32_16x16x16_f16 v[168:171], v[116:117], v[144:145], v[168:171]// 0000000074A0: D3CD00A8 06A32174
	v_cvt_pkrtz_f16_f32 v72, v72, v73                          // 0000000074A8: D2960048 00029348
	v_cvt_pkrtz_f16_f32 v73, v74, v75                          // 0000000074B0: D2960049 0002974A
	v_cvt_pkrtz_f16_f32 v74, v76, v77                          // 0000000074B8: D296004A 00029B4C
	v_mfma_f32_16x16x16_f16 v[172:175], v[118:119], v[144:145], v[172:175]// 0000000074C0: D3CD00AC 06B32176
	v_mov_b32_dpp v16, v72 quad_perm:[1,0,3,2] row_mask:0xf bank_mask:0xf// 0000000074C8: 7E2002FA FF00B148
	v_perm_b32 v48, v16, v72, v15                              // 0000000074D0: D1ED0030 043E9110
	v_mov_b32_dpp v16, v73 quad_perm:[1,0,3,2] row_mask:0xf bank_mask:0xf// 0000000074D8: 7E2002FA FF00B149
	v_mfma_f32_16x16x16_f16 v[176:179], v[120:121], v[144:145], v[176:179]// 0000000074E0: D3CD00B0 06C32178
	v_perm_b32 v49, v16, v73, v15                              // 0000000074E8: D1ED0031 043E9310
	v_mov_b32_dpp v16, v74 quad_perm:[1,0,3,2] row_mask:0xf bank_mask:0xf// 0000000074F0: 7E2002FA FF00B14A
	v_perm_b32 v50, v16, v74, v15                              // 0000000074F8: D1ED0032 043E9510
	v_mfma_f32_16x16x16_f16 v[180:183], v[122:123], v[144:145], v[180:183]// 000000007500: D3CD00B4 06D3217A
	ds_write_b32 v18, v48 offset:17408                         // 000000007508: D81A4400 00003012
	v_mfma_f32_16x16x16_f16 v[184:187], v[108:109], v[146:147], v[184:187]// 000000007510: D3CD00B8 06E3256C
	v_subrev_f32_dpp v78, v150, v78 quad_perm:[2,2,2,2] row_mask:0xf bank_mask:0xf// 000000007518: 069C9CFA FF00AA96
	v_subrev_f32_dpp v79, v150, v79 quad_perm:[3,3,3,3] row_mask:0xf bank_mask:0xf// 000000007520: 069E9EFA FF00FF96
	v_subrev_f32_dpp v80, v150, v80 quad_perm:[0,0,0,0] row_mask:0xf bank_mask:0xf// 000000007528: 06A0A0FA FF000096
	v_mfma_f32_16x16x16_f16 v[188:191], v[110:111], v[146:147], v[188:191]// 000000007530: D3CD00BC 06F3256E
	ds_write_b32 v18, v49 offset:17952                         // 000000007538: D81A4620 00003112
	v_mfma_f32_16x16x16_f16 v[192:195], v[112:113], v[146:147], v[192:195]// 000000007540: D3CD00C0 07032570
	v_subrev_f32_dpp v81, v150, v81 quad_perm:[1,1,1,1] row_mask:0xf bank_mask:0xf// 000000007548: 06A2A2FA FF005596
	v_subrev_f32_dpp v82, v150, v82 quad_perm:[2,2,2,2] row_mask:0xf bank_mask:0xf// 000000007550: 06A4A4FA FF00AA96
	v_subrev_f32_dpp v83, v150, v83 quad_perm:[3,3,3,3] row_mask:0xf bank_mask:0xf// 000000007558: 06A6A6FA FF00FF96
	v_mfma_f32_16x16x16_f16 v[196:199], v[114:115], v[146:147], v[196:199]// 000000007560: D3CD00C4 07132572
	ds_write_b32 v18, v50 offset:19712                         // 000000007568: D81A4D00 00003212
	v_mfma_f32_16x16x16_f16 v[200:203], v[116:117], v[146:147], v[200:203]// 000000007570: D3CD00C8 07232574
	v_mul_f32_e32 v78, v54, v78                                // 000000007578: 0A9C9D36
	v_mul_f32_e32 v79, v55, v79                                // 00000000757C: 0A9E9F37
	v_mul_f32_e32 v80, v56, v80                                // 000000007580: 0AA0A138
	v_mfma_f32_16x16x16_f16 v[204:207], v[118:119], v[146:147], v[204:207]// 000000007584: D3CD00CC 07332576
	v_mul_f32_e32 v81, v57, v81                                // 00000000758C: 0AA2A339
	v_mul_f32_e32 v82, v58, v82                                // 000000007590: 0AA4A53A
	v_mul_f32_e32 v83, v59, v83                                // 000000007594: 0AA6A73B
	v_mfma_f32_16x16x16_f16 v[208:211], v[120:121], v[146:147], v[208:211]// 000000007598: D3CD00D0 07432578
	v_cvt_pkrtz_f16_f32 v75, v78, v79                          // 0000000075A0: D296004B 00029F4E
	v_cvt_pkrtz_f16_f32 v76, v80, v81                          // 0000000075A8: D296004C 0002A350
	v_cvt_pkrtz_f16_f32 v77, v82, v83                          // 0000000075B0: D296004D 0002A752
	v_mfma_f32_16x16x16_f16 v[212:215], v[122:123], v[146:147], v[212:215]// 0000000075B8: D3CD00D4 0753257A
	v_mov_b32_dpp v16, v75 quad_perm:[1,0,3,2] row_mask:0xf bank_mask:0xf// 0000000075C0: 7E2002FA FF00B14B
	v_perm_b32 v51, v16, v75, v15                              // 0000000075C8: D1ED0033 043E9710
	v_mov_b32_dpp v16, v76 quad_perm:[1,0,3,2] row_mask:0xf bank_mask:0xf// 0000000075D0: 7E2002FA FF00B14C
	v_mfma_f32_16x16x16_f16 v[216:219], v[108:109], v[148:149], v[216:219]// 0000000075D8: D3CD00D8 0763296C
	v_perm_b32 v52, v16, v76, v15                              // 0000000075E0: D1ED0034 043E9910
	v_mov_b32_dpp v16, v77 quad_perm:[1,0,3,2] row_mask:0xf bank_mask:0xf// 0000000075E8: 7E2002FA FF00B14D
	v_perm_b32 v53, v16, v77, v15                              // 0000000075F0: D1ED0035 043E9B10
	v_mfma_f32_16x16x16_f16 v[220:223], v[110:111], v[148:149], v[220:223]// 0000000075F8: D3CD00DC 0773296E
	ds_write_b32 v18, v51 offset:20256                         // 000000007600: D81A4F20 00003312
	v_mfma_f32_16x16x16_f16 v[224:227], v[112:113], v[148:149], v[224:227]// 000000007608: D3CD00E0 07832970
	v_mfma_f32_16x16x16_f16 v[228:231], v[114:115], v[148:149], v[228:231]// 000000007610: D3CD00E4 07932972
	ds_write_b32 v18, v52 offset:22016                         // 000000007618: D81A5600 00003412
	ds_write_b32 v18, v53 offset:22560                         // 000000007620: D81A5820 00003512
	v_mfma_f32_16x16x16_f16 v[232:235], v[116:117], v[148:149], v[232:235]// 000000007628: D3CD00E8 07A32974
	v_mfma_f32_16x16x16_f16 v[236:239], v[118:119], v[148:149], v[236:239]// 000000007630: D3CD00EC 07B32976
	ds_write_b32 v13, v84 offset:4352                          // 000000007638: D81A1100 0000540D
	ds_write_b32 v13, v85 offset:5408                          // 000000007640: D81A1520 0000550D
	v_mfma_f32_16x16x16_f16 v[240:243], v[120:121], v[148:149], v[240:243]// 000000007648: D3CD00F0 07C32978
	s_nop 0                                                    // 000000007650: BF800000
	s_nop 0                                                    // 000000007654: BF800000
	s_nop 0                                                    // 000000007658: BF800000
	v_mfma_f32_16x16x16_f16 v[244:247], v[122:123], v[148:149], v[244:247]// 00000000765C: D3CD00F4 07D3297A
	ds_write_b32 v13, v86 offset:4480                          // 000000007664: D81A1180 0000560D
	ds_write_b32 v13, v87 offset:5536                          // 00000000766C: D81A15A0 0000570D
	s_barrier                                                  // 000000007674: BF8A0000
	v_mfma_f32_16x16x16_f16 a[160:163], a[144:145], v[72:73], a[160:163]// 000000007678: D3CD80A0 0E829190
	buffer_atomic_add_f32 v136, v7, s[32:35], 0 offen          // 000000007680: E1341000 80088807
	v_mfma_f32_16x16x16_f16 a[164:167], a[146:147], v[72:73], a[164:167]// 000000007688: D3CD80A4 0E929192
	ds_read_b32 v124, v21 offset:50688                         // 000000007690: D86CC600 7C000015
	ds_read_b32 v150, v21 offset:50944                         // 000000007698: D86CC700 96000015
	v_mfma_f32_16x16x16_f16 a[168:171], a[148:149], v[72:73], a[168:171]// 0000000076A0: D3CD80A8 0EA29194
	s_waitcnt lgkmcnt(6)                                       // 0000000076A8: BF8CC67F
	s_barrier                                                  // 0000000076AC: BF8A0000
	v_mfma_f32_16x16x16_f16 a[172:175], a[150:151], v[72:73], a[172:175]// 0000000076B0: D3CD80AC 0EB29196
	ds_read_b128 v[48:51], v17 offset:17408                    // 0000000076B8: D9FE4400 30000011
	v_mfma_f32_16x16x16_f16 a[176:179], a[152:153], v[72:73], a[176:179]// 0000000076C0: D3CD80B0 0EC29198
	v_mfma_f32_16x16x16_f16 a[180:183], a[154:155], v[72:73], a[180:183]// 0000000076C8: D3CD80B4 0ED2919A
	ds_read_b128 v[52:55], v17 offset:18560                    // 0000000076D0: D9FE4880 34000011
	v_mfma_f32_16x16x16_f16 a[184:187], a[156:157], v[72:73], a[184:187]// 0000000076D8: D3CD80B8 0EE2919C
	buffer_atomic_add_f32 v137, v8, s[32:35], 0 offen          // 0000000076E0: E1341000 80088908
	v_mfma_f32_16x16x16_f16 a[188:191], a[158:159], v[72:73], a[188:191]// 0000000076E8: D3CD80BC 0EF2919E
	ds_read_b128 v[56:59], v17 offset:19712                    // 0000000076F0: D9FE4D00 38000011
	v_mfma_f32_16x16x16_f16 a[192:195], a[144:145], v[74:75], a[192:195]// 0000000076F8: D3CD80C0 0F029590
	v_mfma_f32_16x16x16_f16 a[196:199], a[146:147], v[74:75], a[196:199]// 000000007700: D3CD80C4 0F129592
	ds_read_b128 v[60:63], v17 offset:20864                    // 000000007708: D9FE5180 3C000011
	v_mfma_f32_16x16x16_f16 a[200:203], a[148:149], v[74:75], a[200:203]// 000000007710: D3CD80C8 0F229594
	v_mfma_f32_16x16x16_f16 a[204:207], a[150:151], v[74:75], a[204:207]// 000000007718: D3CD80CC 0F329596
	ds_read_b128 v[64:67], v17 offset:22016                    // 000000007720: D9FE5600 40000011
	v_mfma_f32_16x16x16_f16 a[208:211], a[152:153], v[74:75], a[208:211]// 000000007728: D3CD80D0 0F429598
	buffer_atomic_add_f32 v138, v7, s[32:35], 0 offen offset:128// 000000007730: E1341080 80088A07
	v_mfma_f32_16x16x16_f16 a[212:215], a[154:155], v[74:75], a[212:215]// 000000007738: D3CD80D4 0F52959A
	ds_read_b128 v[68:71], v17 offset:23168                    // 000000007740: D9FE5A80 44000011
	v_mfma_f32_16x16x16_f16 a[216:219], a[156:157], v[74:75], a[216:219]// 000000007748: D3CD80D8 0F62959C
	v_mfma_f32_16x16x16_f16 a[220:223], a[158:159], v[74:75], a[220:223]// 000000007750: D3CD80DC 0F72959E
	ds_write_b32 v13, v88 offset:13056                         // 000000007758: D81A3300 0000580D
	v_mfma_f32_16x16x16_f16 a[224:227], a[144:145], v[76:77], a[224:227]// 000000007760: D3CD80E0 0F829990
	v_mfma_f32_16x16x16_f16 a[228:231], a[146:147], v[76:77], a[228:231]// 000000007768: D3CD80E4 0F929992
	ds_write_b32 v13, v89 offset:14112                         // 000000007770: D81A3720 0000590D
	v_mfma_f32_16x16x16_f16 a[232:235], a[148:149], v[76:77], a[232:235]// 000000007778: D3CD80E8 0FA29994
	buffer_atomic_add_f32 v139, v8, s[32:35], 0 offen offset:128// 000000007780: E1341080 80088B08
	v_mfma_f32_16x16x16_f16 a[236:239], a[150:151], v[76:77], a[236:239]// 000000007788: D3CD80EC 0FB29996
	ds_write_b32 v13, v90 offset:13184                         // 000000007790: D81A3380 00005A0D
	v_mfma_f32_16x16x16_f16 a[240:243], a[152:153], v[76:77], a[240:243]// 000000007798: D3CD80F0 0FC29998
	v_mfma_f32_16x16x16_f16 a[244:247], a[154:155], v[76:77], a[244:247]// 0000000077A0: D3CD80F4 0FD2999A
	ds_write_b32 v13, v91 offset:14240                         // 0000000077A8: D81A37A0 00005B0D
	v_mfma_f32_16x16x16_f16 a[248:251], a[156:157], v[76:77], a[248:251]// 0000000077B0: D3CD80F8 0FE2999C
	v_mfma_f32_16x16x16_f16 a[252:255], a[158:159], v[76:77], a[252:255]// 0000000077B8: D3CD80FC 0FF2999E
	s_waitcnt vmcnt(8) lgkmcnt(4)                              // 0000000077C0: BF8C0478
	s_barrier                                                  // 0000000077C4: BF8A0000
	v_mfma_f32_16x16x16_f16 v[128:131], v[48:49], a[48:49], 0  // 0000000077C8: D3CD0080 12026130
	v_mul_f32_e32 v124, s48, v124                              // 0000000077D0: 0AF8F830
	s_nop 0                                                    // 0000000077D4: BF800000
	v_mfma_f32_16x16x16_f16 v[128:131], v[50:51], a[52:53], v[128:131]// 0000000077D8: D3CD0080 16026932
	ds_read_b128 a[144:147], v10                               // 0000000077E0: DBFE0000 9000000A
	v_mov_b32_e32 v32, 0                                       // 0000000077E8: 7E400280
	s_mov_b64 exec, s[86:87]                                   // 0000000077EC: BEFE0156
	buffer_load_dword v32, v1, s[8:11], 0 idxen                // 0000000077F0: E0502000 80022001
	s_mov_b64 exec, s[84:85]                                   // 0000000077F8: BEFE0154
	v_mfma_f32_16x16x16_f16 v[128:131], v[52:53], a[56:57], v[128:131]// 0000000077FC: D3CD0080 16027134
	v_mfma_f32_16x16x16_f16 v[128:131], v[54:55], a[60:61], v[128:131]// 000000007804: D3CD0080 16027936
	ds_read_b128 a[148:151], v10 offset:512                    // 00000000780C: DBFE0200 9400000A
	v_mov_b32_e32 v33, 0                                       // 000000007814: 7E420280
	s_mov_b64 exec, s[86:87]                                   // 000000007818: BEFE0156
	buffer_load_dword v33, v2, s[8:11], 0 idxen                // 00000000781C: E0502000 80022102
	s_mov_b64 exec, s[84:85]                                   // 000000007824: BEFE0154
	v_mfma_f32_16x16x16_f16 v[128:131], v[56:57], a[64:65], v[128:131]// 000000007828: D3CD0080 16028138
	v_perm_b32 v84, v37, v36, s63                              // 000000007830: D1ED0054 00FE4925
	v_perm_b32 v85, v37, v36, s64                              // 000000007838: D1ED0055 01024925
	v_mfma_f32_16x16x16_f16 v[128:131], v[58:59], a[68:69], v[128:131]// 000000007840: D3CD0080 1602893A
	ds_read_b128 a[152:155], v10 offset:2176                   // 000000007848: DBFE0880 9800000A
	v_mov_b32_e32 v34, 0                                       // 000000007850: 7E440280
	s_mov_b64 exec, s[86:87]                                   // 000000007854: BEFE0156
	buffer_load_dword v34, v3, s[8:11], 0 idxen                // 000000007858: E0502000 80022203
	s_mov_b64 exec, s[84:85]                                   // 000000007860: BEFE0154
	v_mfma_f32_16x16x16_f16 v[128:131], v[60:61], a[72:73], v[128:131]// 000000007864: D3CD0080 1602913C
	v_perm_b32 v86, v39, v38, s63                              // 00000000786C: D1ED0056 00FE4D27
	v_perm_b32 v87, v39, v38, s64                              // 000000007874: D1ED0057 01024D27
	v_mfma_f32_16x16x16_f16 v[128:131], v[62:63], a[76:77], v[128:131]// 00000000787C: D3CD0080 1602993E
	ds_read_b128 a[156:159], v10 offset:2688                   // 000000007884: DBFE0A80 9C00000A
	v_mov_b32_e32 v35, 0                                       // 00000000788C: 7E460280
	s_mov_b64 exec, s[86:87]                                   // 000000007890: BEFE0156
	buffer_load_dword v35, v4, s[8:11], 0 idxen                // 000000007894: E0502000 80022304
	s_mov_b64 exec, s[84:85]                                   // 00000000789C: BEFE0154
	v_mfma_f32_16x16x16_f16 v[128:131], v[64:65], a[80:81], v[128:131]// 0000000078A0: D3CD0080 1602A140
	v_perm_b32 v88, v45, v44, s63                              // 0000000078A8: D1ED0058 00FE592D
	v_perm_b32 v89, v45, v44, s64                              // 0000000078B0: D1ED0059 0102592D
	v_mfma_f32_16x16x16_f16 v[128:131], v[66:67], a[84:85], v[128:131]// 0000000078B8: D3CD0080 1602A942
	ds_read_b128 v[92:95], v10 offset:8704                     // 0000000078C0: D9FE2200 5C00000A
	v_mov_b32_e32 v40, 0                                       // 0000000078C8: 7E500280
	s_mov_b64 exec, s[86:87]                                   // 0000000078CC: BEFE0156
	buffer_load_dword v40, v248, s[20:23], 0 idxen             // 0000000078D0: E0502000 800528F8
	s_mov_b64 exec, s[84:85]                                   // 0000000078D8: BEFE0154
	v_mfma_f32_16x16x16_f16 v[128:131], v[68:69], a[88:89], v[128:131]// 0000000078DC: D3CD0080 1602B144
	v_perm_b32 v90, v47, v46, s63                              // 0000000078E4: D1ED005A 00FE5D2F
	v_perm_b32 v91, v47, v46, s64                              // 0000000078EC: D1ED005B 01025D2F
	v_mfma_f32_16x16x16_f16 v[128:131], v[70:71], a[92:93], v[128:131]// 0000000078F4: D3CD0080 1602B946
	ds_read_b128 v[96:99], v10 offset:9216                     // 0000000078FC: D9FE2400 6000000A
	v_mov_b32_e32 v41, 0                                       // 000000007904: 7E520280
	s_mov_b64 exec, s[86:87]                                   // 000000007908: BEFE0156
	buffer_load_dword v41, v249, s[20:23], 0 idxen             // 00000000790C: E0502000 800529F9
	s_mov_b64 exec, s[84:85]                                   // 000000007914: BEFE0154
	v_mfma_f32_16x16x16_f16 v[132:135], v[48:49], a[50:51], 0  // 000000007918: D3CD0084 12026530
	v_mov_b32_dpp v127, v124 quad_perm:[3,3,3,3] row_mask:0xf bank_mask:0xf// 000000007920: 7EFE02FA FF00FF7C
	v_mov_b32_dpp v126, v124 quad_perm:[2,2,2,2] row_mask:0xf bank_mask:0xf// 000000007928: 7EFC02FA FF00AA7C
	v_mfma_f32_16x16x16_f16 v[132:135], v[50:51], a[54:55], v[132:135]// 000000007930: D3CD0084 16126D32
	ds_read_b128 v[100:103], v10 offset:10880                  // 000000007938: D9FE2A80 6400000A
	v_mov_b32_e32 v42, 0                                       // 000000007940: 7E540280
	s_mov_b64 exec, s[86:87]                                   // 000000007944: BEFE0156
	buffer_load_dword v42, v250, s[20:23], 0 idxen             // 000000007948: E0502000 80052AFA
	s_mov_b64 exec, s[84:85]                                   // 000000007950: BEFE0154
	v_mfma_f32_16x16x16_f16 v[132:135], v[52:53], a[58:59], v[132:135]// 000000007954: D3CD0084 16127534
	v_mov_b32_dpp v125, v124 quad_perm:[1,1,1,1] row_mask:0xf bank_mask:0xf// 00000000795C: 7EFA02FA FF00557C
	v_mov_b32_dpp v124, v124 quad_perm:[0,0,0,0] row_mask:0xf bank_mask:0xf// 000000007964: 7EF802FA FF00007C
	s_add_u32 s60, 64, s59                                     // 00000000796C: 803C3BC0
	v_mfma_f32_16x16x16_f16 v[132:135], v[54:55], a[62:63], v[132:135]// 000000007970: D3CD0084 16127D36
	ds_read_b128 v[104:107], v10 offset:11392                  // 000000007978: D9FE2C80 6800000A
	v_mov_b32_e32 v43, 0                                       // 000000007980: 7E560280
	s_mov_b64 exec, s[86:87]                                   // 000000007984: BEFE0156
	buffer_load_dword v43, v251, s[20:23], 0 idxen             // 000000007988: E0502000 80052BFB
	s_mov_b64 exec, s[84:85]                                   // 000000007990: BEFE0154
	v_mfma_f32_16x16x16_f16 v[132:135], v[56:57], a[66:67], v[132:135]// 000000007994: D3CD0084 16128538
	s_cmp_lt_u32 s60, s58                                      // 00000000799C: BF0A3A3C
	s_cselect_b32 s68, s68, 0                                  // 0000000079A0: 85448044
	s_cselect_b32 s95, s95, 0                                  // 0000000079A4: 855F805F
	s_cselect_b32 s69, s69, 0                                  // 0000000079A8: 85458045
	v_mfma_f32_16x16x16_f16 v[132:135], v[58:59], a[70:71], v[132:135]// 0000000079AC: D3CD0084 16128D3A
	buffer_load_dword v9, s[24:27], 0 idxen lds                // 0000000079B4: E0512000 80060009
	v_mfma_f32_16x16x16_f16 v[132:135], v[60:61], a[74:75], v[132:135]// 0000000079BC: D3CD0084 1612953C
	v_add_u32_e32 v1, s68, v1                                  // 0000000079C4: 68020244
	v_add_u32_e32 v2, s68, v2                                  // 0000000079C8: 68040444
	v_add_u32_e32 v3, s68, v3                                  // 0000000079CC: 68060644
	v_add_u32_e32 v4, s68, v4                                  // 0000000079D0: 68080844
	v_mfma_f32_16x16x16_f16 v[132:135], v[62:63], a[78:79], v[132:135]// 0000000079D4: D3CD0084 16129D3E
	v_add_u32_e32 v248, s95, v248                              // 0000000079DC: 69F1F05F
	v_add_u32_e32 v249, s95, v249                              // 0000000079E0: 69F3F25F
	v_add_u32_e32 v250, s95, v250                              // 0000000079E4: 69F5F45F
	v_add_u32_e32 v251, s95, v251                              // 0000000079E8: 69F7F65F
	v_mfma_f32_16x16x16_f16 v[132:135], v[64:65], a[82:83], v[132:135]// 0000000079EC: D3CD0084 1612A540
	s_mov_b32 m0, s75                                          // 0000000079F4: BEFC004B
	v_add_u32_e32 v9, s69, v9                                  // 0000000079F8: 68121245
	v_mfma_f32_16x16x16_f16 v[132:135], v[66:67], a[86:87], v[132:135]// 0000000079FC: D3CD0084 1612AD42
	s_cmp_ge_u32 s59, 16                                       // 000000007A04: BF09903B
	s_cselect_b32 s66, s67, s66                                // 000000007A08: 85424243
	v_mfma_f32_16x16x16_f16 v[132:135], v[68:69], a[90:91], v[132:135]// 000000007A0C: D3CD0084 1612B544
	s_addk_i32 s59, 0x10                                       // 000000007A14: B73B0010
	s_nop 0                                                    // 000000007A18: BF800000
	s_cmp_lt_i32 s59, s58                                      // 000000007A1C: BF043A3B
	v_mfma_f32_16x16x16_f16 v[132:135], v[70:71], a[94:95], v[132:135]// 000000007A20: D3CD0084 1612BD46
	s_cbranch_scc0 label_0F16                                  // 000000007A28: BF840001
	s_branch label_09C1                                        // 000000007A2C: BF82FAB5

0000000000007a30 <label_0F16>:
	s_nop 0                                                    // 000000007A30: BF800000
	s_nop 0                                                    // 000000007A34: BF800000
	s_branch label_146E                                        // 000000007A38: BF82054B

0000000000007a3c <label_0F19>:
	s_waitcnt lgkmcnt(0)                                       // 000000007A3C: BF8CC07F
	s_barrier                                                  // 000000007A40: BF8A0000
	v_mfma_f32_16x16x16_f16 v[48:51], a[144:145], a[0:1], 0    // 000000007A44: D3CD0030 1A020190
	v_mul_f32_e32 v128, s47, v128                              // 000000007A4C: 0B01002F
	v_mul_f32_e32 v129, s47, v129                              // 000000007A50: 0B03022F
	v_mfma_f32_16x16x16_f16 v[48:51], a[146:147], a[2:3], v[48:51]// 000000007A54: D3CD0030 1CC20592
	ds_write_b32 v11, v44 offset:8704                          // 000000007A5C: D81A2200 00002C0B
	ds_write_b32 v11, v45 offset:9760                          // 000000007A64: D81A2620 00002D0B
	v_mfma_f32_16x16x16_f16 v[48:51], a[148:149], a[4:5], v[48:51]// 000000007A6C: D3CD0030 1CC20994
	v_mul_f32_e32 v130, s47, v130                              // 000000007A74: 0B05042F
	v_mul_f32_e32 v131, s47, v131                              // 000000007A78: 0B07062F
	v_mfma_f32_16x16x16_f16 v[48:51], a[150:151], a[6:7], v[48:51]// 000000007A7C: D3CD0030 1CC20D96
	ds_write_b32 v11, v46 offset:8832                          // 000000007A84: D81A2280 00002E0B
	ds_write_b32 v11, v47 offset:9888                          // 000000007A8C: D81A26A0 00002F0B
	v_mfma_f32_16x16x16_f16 v[48:51], a[152:153], a[8:9], v[48:51]// 000000007A94: D3CD0030 1CC21198
	v_mul_f32_e32 v132, s47, v132                              // 000000007A9C: 0B09082F
	v_mul_f32_e32 v133, s47, v133                              // 000000007AA0: 0B0B0A2F
	v_mfma_f32_16x16x16_f16 v[48:51], a[154:155], a[10:11], v[48:51]// 000000007AA4: D3CD0030 1CC2159A
	ds_write_b64 v20, v[128:129] offset:24320                  // 000000007AAC: D89A5F00 00008014
	v_mfma_f32_16x16x16_f16 v[48:51], a[156:157], a[12:13], v[48:51]// 000000007AB4: D3CD0030 1CC2199C
	v_mul_f32_e32 v134, s47, v134                              // 000000007ABC: 0B0D0C2F
	v_mul_f32_e32 v135, s47, v135                              // 000000007AC0: 0B0F0E2F
	v_mfma_f32_16x16x16_f16 v[48:51], a[158:159], a[14:15], v[48:51]// 000000007AC4: D3CD0030 1CC21D9E
	ds_write_b64 v20, v[130:131] offset:24832                  // 000000007ACC: D89A6100 00008214
	v_mfma_f32_16x16x16_f16 v[52:55], a[144:145], a[16:17], 0  // 000000007AD4: D3CD0034 1A022190
	buffer_atomic_add_f32 v140, v7, s[32:35], 0 offen offset:256// 000000007ADC: E1341100 80088C07
	v_mfma_f32_16x16x16_f16 v[52:55], a[146:147], a[18:19], v[52:55]// 000000007AE4: D3CD0034 1CD22592
	ds_write_b64 v20, v[132:133] offset:25344                  // 000000007AEC: D89A6300 00008414
	v_mfma_f32_16x16x16_f16 v[52:55], a[148:149], a[20:21], v[52:55]// 000000007AF4: D3CD0034 1CD22994
	v_mfma_f32_16x16x16_f16 v[52:55], a[150:151], a[22:23], v[52:55]// 000000007AFC: D3CD0034 1CD22D96
	ds_write_b64 v20, v[134:135] offset:25856                  // 000000007B04: D89A6500 00008614
	v_mfma_f32_16x16x16_f16 v[52:55], a[152:153], a[24:25], v[52:55]// 000000007B0C: D3CD0034 1CD23198
	buffer_atomic_add_f32 v141, v8, s[32:35], 0 offen offset:256// 000000007B14: E1341100 80088D08
	v_mfma_f32_16x16x16_f16 v[52:55], a[154:155], a[26:27], v[52:55]// 000000007B1C: D3CD0034 1CD2359A
	ds_read_b128 v[108:111], v12 offset:13056                  // 000000007B24: D9FE3300 6C00000C
	ds_write_b32 v11, v36                                      // 000000007B2C: D81A0000 0000240B
	v_mfma_f32_16x16x16_f16 v[52:55], a[156:157], a[28:29], v[52:55]// 000000007B34: D3CD0034 1CD2399C
	v_mfma_f32_16x16x16_f16 v[52:55], a[158:159], a[30:31], v[52:55]// 000000007B3C: D3CD0034 1CD23D9E
	v_mfma_f32_16x16x16_f16 v[56:59], a[144:145], a[32:33], 0  // 000000007B44: D3CD0038 1A024190
	ds_read_b128 v[112:115], v12 offset:13568                  // 000000007B4C: D9FE3500 7000000C
	ds_write_b32 v11, v37 offset:1056                          // 000000007B54: D81A0420 0000250B
	v_mfma_f32_16x16x16_f16 v[56:59], a[146:147], a[34:35], v[56:59]// 000000007B5C: D3CD0038 1CE24592
	buffer_atomic_add_f32 v142, v7, s[32:35], 0 offen offset:384// 000000007B64: E1341180 80088E07
	v_mfma_f32_16x16x16_f16 v[56:59], a[148:149], a[36:37], v[56:59]// 000000007B6C: D3CD0038 1CE24994
	v_mfma_f32_16x16x16_f16 v[56:59], a[150:151], a[38:39], v[56:59]// 000000007B74: D3CD0038 1CE24D96
	ds_read_b128 v[116:119], v12 offset:15232                  // 000000007B7C: D9FE3B80 7400000C
	ds_write_b32 v11, v38 offset:128                           // 000000007B84: D81A0080 0000260B
	v_mfma_f32_16x16x16_f16 v[56:59], a[152:153], a[40:41], v[56:59]// 000000007B8C: D3CD0038 1CE25198
	v_mfma_f32_16x16x16_f16 v[56:59], a[154:155], a[42:43], v[56:59]// 000000007B94: D3CD0038 1CE2559A
	buffer_atomic_add_f32 v143, v8, s[32:35], 0 offen offset:384// 000000007B9C: E1341180 80088F08
	v_mfma_f32_16x16x16_f16 v[56:59], a[156:157], a[44:45], v[56:59]// 000000007BA4: D3CD0038 1CE2599C
	ds_read_b128 v[120:123], v12 offset:15744                  // 000000007BAC: D9FE3D80 7800000C
	ds_write_b32 v11, v39 offset:1184                          // 000000007BB4: D81A04A0 0000270B
	v_mfma_f32_16x16x16_f16 v[56:59], a[158:159], a[46:47], v[56:59]// 000000007BBC: D3CD0038 1CE25D9E
	s_cmp_lt_i32 s97, 0xc0                                     // 000000007BC4: BF04FF61 000000C0
	s_cbranch_scc0 label_0FD0                                  // 000000007BCC: BF84004D
	s_cmp_le_i32 s97, 64                                       // 000000007BD0: BF05C061
	s_cbranch_scc1 label_0F87                                  // 000000007BD4: BF850007
	s_cmp_le_i32 s97, 0x80                                     // 000000007BD8: BF05FF61 00000080
	s_cbranch_scc1 label_0F9F                                  // 000000007BE0: BF850017
	s_cmp_lt_i32 s97, 0xc0                                     // 000000007BE4: BF04FF61 000000C0
	s_cbranch_scc1 label_0FB7                                  // 000000007BEC: BF85002C
	s_branch label_0FD0                                        // 000000007BF0: BF820044

0000000000007bf4 <label_0F87>:
	s_mov_b32 s60, 0                                           // 000000007BF4: BEBC0080
	v_and_b32_e32 v28, 15, v0                                  // 000000007BF8: 2638008F
	v_add_u32_e64 v28, v28, s60                                // 000000007BFC: D134001C 0000791C
	v_mul_i32_i24_e64 v29, s46, 16                             // 000000007C04: D106001D 0001202E
	v_add_u32_e32 v28, v28, v29                                // 000000007C0C: 68383B1C
	v_cmp_lt_u32_e64 s[60:61], v28, s97                        // 000000007C10: D0C9003C 0000C31C
	s_nop 1                                                    // 000000007C18: BF800001
	v_cndmask_b32_e64 v48, v151, v48, s[60:61]                 // 000000007C1C: D1000030 00F26197
	v_cndmask_b32_e64 v49, v151, v49, s[60:61]                 // 000000007C24: D1000031 00F26397
	v_cndmask_b32_e64 v50, v151, v50, s[60:61]                 // 000000007C2C: D1000032 00F26597
	v_cndmask_b32_e64 v51, v151, v51, s[60:61]                 // 000000007C34: D1000033 00F26797
	s_branch label_0FB2                                        // 000000007C3C: BF820013

0000000000007c40 <label_0F9F>:
	s_mov_b32 s60, 64                                          // 000000007C40: BEBC00C0
	v_and_b32_e32 v28, 15, v0                                  // 000000007C44: 2638008F
	v_add_u32_e64 v28, v28, s60                                // 000000007C48: D134001C 0000791C
	v_mul_i32_i24_e64 v29, s46, 16                             // 000000007C50: D106001D 0001202E
	v_add_u32_e32 v28, v28, v29                                // 000000007C58: 68383B1C
	v_cmp_lt_u32_e64 s[60:61], v28, s97                        // 000000007C5C: D0C9003C 0000C31C
	s_nop 1                                                    // 000000007C64: BF800001
	v_cndmask_b32_e64 v52, v151, v52, s[60:61]                 // 000000007C68: D1000034 00F26997
	v_cndmask_b32_e64 v53, v151, v53, s[60:61]                 // 000000007C70: D1000035 00F26B97
	v_cndmask_b32_e64 v54, v151, v54, s[60:61]                 // 000000007C78: D1000036 00F26D97
	v_cndmask_b32_e64 v55, v151, v55, s[60:61]                 // 000000007C80: D1000037 00F26F97
	s_branch label_0FCB                                        // 000000007C88: BF820019

0000000000007c8c <label_0FB2>:
	v_mov_b32_e32 v52, v151                                    // 000000007C8C: 7E680397
	v_mov_b32_e32 v53, v151                                    // 000000007C90: 7E6A0397
	v_mov_b32_e32 v54, v151                                    // 000000007C94: 7E6C0397
	v_mov_b32_e32 v55, v151                                    // 000000007C98: 7E6E0397
	s_branch label_0FCB                                        // 000000007C9C: BF820014

0000000000007ca0 <label_0FB7>:
	s_mov_b32 s60, 0x80                                        // 000000007CA0: BEBC00FF 00000080
	v_and_b32_e32 v28, 15, v0                                  // 000000007CA8: 2638008F
	v_add_u32_e64 v28, v28, s60                                // 000000007CAC: D134001C 0000791C
	v_mul_i32_i24_e64 v29, s46, 16                             // 000000007CB4: D106001D 0001202E
	v_add_u32_e32 v28, v28, v29                                // 000000007CBC: 68383B1C
	v_cmp_lt_u32_e64 s[60:61], v28, s97                        // 000000007CC0: D0C9003C 0000C31C
	s_nop 1                                                    // 000000007CC8: BF800001
	v_cndmask_b32_e64 v56, v151, v56, s[60:61]                 // 000000007CCC: D1000038 00F27197
	v_cndmask_b32_e64 v57, v151, v57, s[60:61]                 // 000000007CD4: D1000039 00F27397
	v_cndmask_b32_e64 v58, v151, v58, s[60:61]                 // 000000007CDC: D100003A 00F27597
	v_cndmask_b32_e64 v59, v151, v59, s[60:61]                 // 000000007CE4: D100003B 00F27797
	s_branch label_0FD0                                        // 000000007CEC: BF820005

0000000000007cf0 <label_0FCB>:
	v_mov_b32_e32 v56, v151                                    // 000000007CF0: 7E700397
	v_mov_b32_e32 v57, v151                                    // 000000007CF4: 7E720397
	v_mov_b32_e32 v58, v151                                    // 000000007CF8: 7E740397
	v_mov_b32_e32 v59, v151                                    // 000000007CFC: 7E760397
	s_branch label_0FD0                                        // 000000007D00: BF820000

0000000000007d04 <label_0FD0>:
	s_waitcnt lgkmcnt(8)                                       // 000000007D04: BF8CC87F
	s_barrier                                                  // 000000007D08: BF8A0000
	v_mfma_f32_16x16x16_f16 v[72:75], v[92:93], a[96:97], 0    // 000000007D0C: D3CD0048 1202C15C
	v_fma_f32 v48, v48, s57, -v124                             // 000000007D14: D1CB0030 85F07330
	v_fma_f32 v49, v49, s57, -v125                             // 000000007D1C: D1CB0031 85F47331
	v_fma_f32 v50, v50, s57, -v126                             // 000000007D24: D1CB0032 85F87332
	v_mfma_f32_16x16x16_f16 v[72:75], v[94:95], a[98:99], v[72:75]// 000000007D2C: D3CD0048 1522C55E
	ds_read_b128 a[144:147], v12 offset:4352                   // 000000007D34: DBFE1100 9000000C
	ds_read_b128 a[148:151], v12 offset:4864                   // 000000007D3C: DBFE1300 9400000C
	v_mfma_f32_16x16x16_f16 v[72:75], v[96:97], a[100:101], v[72:75]// 000000007D44: D3CD0048 1522C960
	v_fma_f32 v51, v51, s57, -v127                             // 000000007D4C: D1CB0033 85FC7333
	v_fma_f32 v52, v52, s57, -v124                             // 000000007D54: D1CB0034 85F07334
	v_fma_f32 v53, v53, s57, -v125                             // 000000007D5C: D1CB0035 85F47335
	v_mfma_f32_16x16x16_f16 v[72:75], v[98:99], a[102:103], v[72:75]// 000000007D64: D3CD0048 1522CD62
	v_fma_f32 v54, v54, s57, -v126                             // 000000007D6C: D1CB0036 85F87336
	v_fma_f32 v55, v55, s57, -v127                             // 000000007D74: D1CB0037 85FC7337
	v_fma_f32 v56, v56, s57, -v124                             // 000000007D7C: D1CB0038 85F07338
	v_mfma_f32_16x16x16_f16 v[72:75], v[100:101], a[104:105], v[72:75]// 000000007D84: D3CD0048 1522D164
	v_fma_f32 v57, v57, s57, -v125                             // 000000007D8C: D1CB0039 85F47339
	v_fma_f32 v58, v58, s57, -v126                             // 000000007D94: D1CB003A 85F8733A
	v_fma_f32 v59, v59, s57, -v127                             // 000000007D9C: D1CB003B 85FC733B
	v_mfma_f32_16x16x16_f16 v[72:75], v[102:103], a[106:107], v[72:75]// 000000007DA4: D3CD0048 1522D566
	ds_read_b128 a[152:155], v12 offset:6528                   // 000000007DAC: DBFE1980 9800000C
	ds_read_b128 a[156:159], v12 offset:7040                   // 000000007DB4: DBFE1B80 9C00000C
	v_mfma_f32_16x16x16_f16 v[72:75], v[104:105], a[108:109], v[72:75]// 000000007DBC: D3CD0048 1522D968
	v_exp_f32_e32 v48, v48                                     // 000000007DC4: 7E604130
	v_mfma_f32_16x16x16_f16 v[72:75], v[106:107], a[110:111], v[72:75]// 000000007DC8: D3CD0048 1522DD6A
	v_exp_f32_e32 v49, v49                                     // 000000007DD0: 7E624131
	v_mfma_f32_16x16x16_f16 v[76:79], v[92:93], a[112:113], 0  // 000000007DD4: D3CD004C 1202E15C
	v_exp_f32_e32 v50, v50                                     // 000000007DDC: 7E644132
	v_mfma_f32_16x16x16_f16 v[76:79], v[94:95], a[114:115], v[76:79]// 000000007DE0: D3CD004C 1532E55E
	ds_read_b64 v[136:137], v19 offset:24320                   // 000000007DE8: D8EC5F00 88000013
	ds_read_b64 v[138:139], v19 offset:26368                   // 000000007DF0: D8EC6700 8A000013
	v_mfma_f32_16x16x16_f16 v[76:79], v[96:97], a[116:117], v[76:79]// 000000007DF8: D3CD004C 1532E960
	v_exp_f32_e32 v51, v51                                     // 000000007E00: 7E664133
	v_mfma_f32_16x16x16_f16 v[76:79], v[98:99], a[118:119], v[76:79]// 000000007E04: D3CD004C 1532ED62
	ds_read_b64 v[140:141], v19 offset:28416                   // 000000007E0C: D8EC6F00 8C000013
	ds_read_b64 v[142:143], v19 offset:30464                   // 000000007E14: D8EC7700 8E000013
	v_mfma_f32_16x16x16_f16 v[76:79], v[100:101], a[120:121], v[76:79]// 000000007E1C: D3CD004C 1532F164
	v_exp_f32_e32 v52, v52                                     // 000000007E24: 7E684134
	v_mfma_f32_16x16x16_f16 v[76:79], v[102:103], a[122:123], v[76:79]// 000000007E28: D3CD004C 1532F566
	v_exp_f32_e32 v53, v53                                     // 000000007E30: 7E6A4135
	v_mfma_f32_16x16x16_f16 v[76:79], v[104:105], a[124:125], v[76:79]// 000000007E34: D3CD004C 1532F968
	v_exp_f32_e32 v54, v54                                     // 000000007E3C: 7E6C4136
	v_mfma_f32_16x16x16_f16 v[76:79], v[106:107], a[126:127], v[76:79]// 000000007E40: D3CD004C 1532FD6A
	v_exp_f32_e32 v55, v55                                     // 000000007E48: 7E6E4137
	v_mfma_f32_16x16x16_f16 v[80:83], v[92:93], a[128:129], 0  // 000000007E4C: D3CD0050 1203015C
	v_exp_f32_e32 v56, v56                                     // 000000007E54: 7E704138
	v_mfma_f32_16x16x16_f16 v[80:83], v[94:95], a[130:131], v[80:83]// 000000007E58: D3CD0050 1543055E
	v_exp_f32_e32 v57, v57                                     // 000000007E60: 7E724139
	v_mfma_f32_16x16x16_f16 v[80:83], v[96:97], a[132:133], v[80:83]// 000000007E64: D3CD0050 15430960
	v_exp_f32_e32 v58, v58                                     // 000000007E6C: 7E74413A
	v_mfma_f32_16x16x16_f16 v[80:83], v[98:99], a[134:135], v[80:83]// 000000007E70: D3CD0050 15430D62
	v_exp_f32_e32 v59, v59                                     // 000000007E78: 7E76413B
	v_mfma_f32_16x16x16_f16 v[80:83], v[100:101], a[136:137], v[80:83]// 000000007E7C: D3CD0050 15431164
	v_cvt_pkrtz_f16_f32 v144, v48, v49                         // 000000007E84: D2960090 00026330
	v_cvt_pkrtz_f16_f32 v145, v50, v51                         // 000000007E8C: D2960091 00026732
	v_cvt_pkrtz_f16_f32 v146, v52, v53                         // 000000007E94: D2960092 00026B34
	v_mfma_f32_16x16x16_f16 v[80:83], v[102:103], a[138:139], v[80:83]// 000000007E9C: D3CD0050 15431566
	v_cvt_pkrtz_f16_f32 v147, v54, v55                         // 000000007EA4: D2960093 00026F36
	v_cvt_pkrtz_f16_f32 v148, v56, v57                         // 000000007EAC: D2960094 00027338
	v_cvt_pkrtz_f16_f32 v149, v58, v59                         // 000000007EB4: D2960095 0002773A
	v_mfma_f32_16x16x16_f16 v[80:83], v[104:105], a[140:141], v[80:83]// 000000007EBC: D3CD0050 15431968
	v_add_u32_e32 v7, s66, v7                                  // 000000007EC4: 680E0E42
	v_add_u32_e32 v8, s66, v8                                  // 000000007EC8: 68101042
	v_mfma_f32_16x16x16_f16 v[80:83], v[106:107], a[142:143], v[80:83]// 000000007ECC: D3CD0050 15431D6A
	s_waitcnt lgkmcnt(0)                                       // 000000007ED4: BF8CC07F
	s_barrier                                                  // 000000007ED8: BF8A0000
	v_mfma_f32_16x16x16_f16 v[152:155], v[108:109], v[144:145], v[152:155]// 000000007EDC: D3CD0098 0663216C
	v_subrev_f32_dpp v72, v150, v72 quad_perm:[0,0,0,0] row_mask:0xf bank_mask:0xf// 000000007EE4: 069090FA FF000096
	v_subrev_f32_dpp v73, v150, v73 quad_perm:[1,1,1,1] row_mask:0xf bank_mask:0xf// 000000007EEC: 069292FA FF005596
	v_subrev_f32_dpp v74, v150, v74 quad_perm:[2,2,2,2] row_mask:0xf bank_mask:0xf// 000000007EF4: 069494FA FF00AA96
	v_mfma_f32_16x16x16_f16 v[156:159], v[110:111], v[144:145], v[156:159]// 000000007EFC: D3CD009C 0673216E
	v_subrev_f32_dpp v75, v150, v75 quad_perm:[3,3,3,3] row_mask:0xf bank_mask:0xf// 000000007F04: 069696FA FF00FF96
	v_subrev_f32_dpp v76, v150, v76 quad_perm:[0,0,0,0] row_mask:0xf bank_mask:0xf// 000000007F0C: 069898FA FF000096
	v_subrev_f32_dpp v77, v150, v77 quad_perm:[1,1,1,1] row_mask:0xf bank_mask:0xf// 000000007F14: 069A9AFA FF005596
	v_mfma_f32_16x16x16_f16 v[160:163], v[112:113], v[144:145], v[160:163]// 000000007F1C: D3CD00A0 06832170
	v_mul_f32_e32 v72, v48, v72                                // 000000007F24: 0A909130
	v_mul_f32_e32 v73, v49, v73                                // 000000007F28: 0A929331
	v_mul_f32_e32 v74, v50, v74                                // 000000007F2C: 0A949532
	v_mfma_f32_16x16x16_f16 v[164:167], v[114:115], v[144:145], v[164:167]// 000000007F30: D3CD00A4 06932172
	v_mul_f32_e32 v75, v51, v75                                // 000000007F38: 0A969733
	v_mul_f32_e32 v76, v52, v76                                // 000000007F3C: 0A989934
	v_mul_f32_e32 v77, v53, v77                                // 000000007F40: 0A9A9B35
	v_mfma_f32_16x16x16_f16 v[168:171], v[116:117], v[144:145], v[168:171]// 000000007F44: D3CD00A8 06A32174
	v_cvt_pkrtz_f16_f32 v72, v72, v73                          // 000000007F4C: D2960048 00029348
	v_cvt_pkrtz_f16_f32 v73, v74, v75                          // 000000007F54: D2960049 0002974A
	v_cvt_pkrtz_f16_f32 v74, v76, v77                          // 000000007F5C: D296004A 00029B4C
	v_mfma_f32_16x16x16_f16 v[172:175], v[118:119], v[144:145], v[172:175]// 000000007F64: D3CD00AC 06B32176
	v_mov_b32_dpp v16, v72 quad_perm:[1,0,3,2] row_mask:0xf bank_mask:0xf// 000000007F6C: 7E2002FA FF00B148
	v_perm_b32 v48, v16, v72, v15                              // 000000007F74: D1ED0030 043E9110
	v_mov_b32_dpp v16, v73 quad_perm:[1,0,3,2] row_mask:0xf bank_mask:0xf// 000000007F7C: 7E2002FA FF00B149
	v_mfma_f32_16x16x16_f16 v[176:179], v[120:121], v[144:145], v[176:179]// 000000007F84: D3CD00B0 06C32178
	ds_write_b32 v18, v48 offset:17408                         // 000000007F8C: D81A4400 00003012
	v_mfma_f32_16x16x16_f16 v[180:183], v[122:123], v[144:145], v[180:183]// 000000007F94: D3CD00B4 06D3217A
	v_perm_b32 v49, v16, v73, v15                              // 000000007F9C: D1ED0031 043E9310
	v_mov_b32_dpp v16, v74 quad_perm:[1,0,3,2] row_mask:0xf bank_mask:0xf// 000000007FA4: 7E2002FA FF00B14A
	v_perm_b32 v50, v16, v74, v15                              // 000000007FAC: D1ED0032 043E9510
	v_mfma_f32_16x16x16_f16 v[184:187], v[108:109], v[146:147], v[184:187]// 000000007FB4: D3CD00B8 06E3256C
	ds_write_b32 v18, v49 offset:17952                         // 000000007FBC: D81A4620 00003112
	v_mfma_f32_16x16x16_f16 v[188:191], v[110:111], v[146:147], v[188:191]// 000000007FC4: D3CD00BC 06F3256E
	v_subrev_f32_dpp v78, v150, v78 quad_perm:[2,2,2,2] row_mask:0xf bank_mask:0xf// 000000007FCC: 069C9CFA FF00AA96
	v_subrev_f32_dpp v79, v150, v79 quad_perm:[3,3,3,3] row_mask:0xf bank_mask:0xf// 000000007FD4: 069E9EFA FF00FF96
	v_subrev_f32_dpp v80, v150, v80 quad_perm:[0,0,0,0] row_mask:0xf bank_mask:0xf// 000000007FDC: 06A0A0FA FF000096
	v_mfma_f32_16x16x16_f16 v[192:195], v[112:113], v[146:147], v[192:195]// 000000007FE4: D3CD00C0 07032570
	ds_write_b32 v18, v50 offset:19712                         // 000000007FEC: D81A4D00 00003212
	v_mfma_f32_16x16x16_f16 v[196:199], v[114:115], v[146:147], v[196:199]// 000000007FF4: D3CD00C4 07132572
	v_subrev_f32_dpp v81, v150, v81 quad_perm:[1,1,1,1] row_mask:0xf bank_mask:0xf// 000000007FFC: 06A2A2FA FF005596
	v_subrev_f32_dpp v82, v150, v82 quad_perm:[2,2,2,2] row_mask:0xf bank_mask:0xf// 000000008004: 06A4A4FA FF00AA96
	v_subrev_f32_dpp v83, v150, v83 quad_perm:[3,3,3,3] row_mask:0xf bank_mask:0xf// 00000000800C: 06A6A6FA FF00FF96
	v_mfma_f32_16x16x16_f16 v[200:203], v[116:117], v[146:147], v[200:203]// 000000008014: D3CD00C8 07232574
	v_mul_f32_e32 v78, v54, v78                                // 00000000801C: 0A9C9D36
	v_mul_f32_e32 v79, v55, v79                                // 000000008020: 0A9E9F37
	v_mul_f32_e32 v80, v56, v80                                // 000000008024: 0AA0A138
	v_mfma_f32_16x16x16_f16 v[204:207], v[118:119], v[146:147], v[204:207]// 000000008028: D3CD00CC 07332576
	v_mul_f32_e32 v81, v57, v81                                // 000000008030: 0AA2A339
	v_mul_f32_e32 v82, v58, v82                                // 000000008034: 0AA4A53A
	v_mul_f32_e32 v83, v59, v83                                // 000000008038: 0AA6A73B
	v_mfma_f32_16x16x16_f16 v[208:211], v[120:121], v[146:147], v[208:211]// 00000000803C: D3CD00D0 07432578
	v_cvt_pkrtz_f16_f32 v75, v78, v79                          // 000000008044: D296004B 00029F4E
	v_cvt_pkrtz_f16_f32 v76, v80, v81                          // 00000000804C: D296004C 0002A350
	v_cvt_pkrtz_f16_f32 v77, v82, v83                          // 000000008054: D296004D 0002A752
	v_mfma_f32_16x16x16_f16 v[212:215], v[122:123], v[146:147], v[212:215]// 00000000805C: D3CD00D4 0753257A
	v_mov_b32_dpp v16, v75 quad_perm:[1,0,3,2] row_mask:0xf bank_mask:0xf// 000000008064: 7E2002FA FF00B14B
	v_perm_b32 v51, v16, v75, v15                              // 00000000806C: D1ED0033 043E9710
	v_mov_b32_dpp v16, v76 quad_perm:[1,0,3,2] row_mask:0xf bank_mask:0xf// 000000008074: 7E2002FA FF00B14C
	v_mfma_f32_16x16x16_f16 v[216:219], v[108:109], v[148:149], v[216:219]// 00000000807C: D3CD00D8 0763296C
	ds_write_b32 v18, v51 offset:20256                         // 000000008084: D81A4F20 00003312
	v_mfma_f32_16x16x16_f16 v[220:223], v[110:111], v[148:149], v[220:223]// 00000000808C: D3CD00DC 0773296E
	v_perm_b32 v52, v16, v76, v15                              // 000000008094: D1ED0034 043E9910
	v_mov_b32_dpp v16, v77 quad_perm:[1,0,3,2] row_mask:0xf bank_mask:0xf// 00000000809C: 7E2002FA FF00B14D
	v_perm_b32 v53, v16, v77, v15                              // 0000000080A4: D1ED0035 043E9B10
	v_mfma_f32_16x16x16_f16 v[224:227], v[112:113], v[148:149], v[224:227]// 0000000080AC: D3CD00E0 07832970
	ds_write_b32 v18, v52 offset:22016                         // 0000000080B4: D81A5600 00003412
	ds_write_b32 v18, v53 offset:22560                         // 0000000080BC: D81A5820 00003512
	v_mfma_f32_16x16x16_f16 v[228:231], v[114:115], v[148:149], v[228:231]// 0000000080C4: D3CD00E4 07932972
	v_mfma_f32_16x16x16_f16 v[232:235], v[116:117], v[148:149], v[232:235]// 0000000080CC: D3CD00E8 07A32974
	ds_write_b32 v13, v84 offset:4352                          // 0000000080D4: D81A1100 0000540D
	ds_write_b32 v13, v85 offset:5408                          // 0000000080DC: D81A1520 0000550D
	v_mfma_f32_16x16x16_f16 v[236:239], v[118:119], v[148:149], v[236:239]// 0000000080E4: D3CD00EC 07B32976
	v_mfma_f32_16x16x16_f16 v[240:243], v[120:121], v[148:149], v[240:243]// 0000000080EC: D3CD00F0 07C32978
	ds_write_b32 v13, v86 offset:4480                          // 0000000080F4: D81A1180 0000560D
	ds_write_b32 v13, v87 offset:5536                          // 0000000080FC: D81A15A0 0000570D
	v_mfma_f32_16x16x16_f16 v[244:247], v[122:123], v[148:149], v[244:247]// 000000008104: D3CD00F4 07D3297A
	s_nop 0                                                    // 00000000810C: BF800000
	s_nop 0                                                    // 000000008110: BF800000
	s_nop 0                                                    // 000000008114: BF800000
	s_barrier                                                  // 000000008118: BF8A0000
	v_mfma_f32_16x16x16_f16 a[160:163], a[144:145], v[72:73], a[160:163]// 00000000811C: D3CD80A0 0E829190
	ds_read_b32 v124, v21 offset:51200                         // 000000008124: D86CC800 7C000015
	ds_read_b32 v150, v21 offset:51456                         // 00000000812C: D86CC900 96000015
	v_mfma_f32_16x16x16_f16 a[164:167], a[146:147], v[72:73], a[164:167]// 000000008134: D3CD80A4 0E929192
	buffer_atomic_add_f32 v136, v7, s[32:35], 0 offen          // 00000000813C: E1341000 80088807
	v_mfma_f32_16x16x16_f16 a[168:171], a[148:149], v[72:73], a[168:171]// 000000008144: D3CD80A8 0EA29194
	s_waitcnt lgkmcnt(6)                                       // 00000000814C: BF8CC67F
	s_barrier                                                  // 000000008150: BF8A0000
	v_mfma_f32_16x16x16_f16 a[172:175], a[150:151], v[72:73], a[172:175]// 000000008154: D3CD80AC 0EB29196
	v_mfma_f32_16x16x16_f16 a[176:179], a[152:153], v[72:73], a[176:179]// 00000000815C: D3CD80B0 0EC29198
	ds_read_b128 v[48:51], v17 offset:17408                    // 000000008164: D9FE4400 30000011
	v_mfma_f32_16x16x16_f16 a[180:183], a[154:155], v[72:73], a[180:183]// 00000000816C: D3CD80B4 0ED2919A
	v_mfma_f32_16x16x16_f16 a[184:187], a[156:157], v[72:73], a[184:187]// 000000008174: D3CD80B8 0EE2919C
	ds_read_b128 v[52:55], v17 offset:18560                    // 00000000817C: D9FE4880 34000011
	v_mfma_f32_16x16x16_f16 a[188:191], a[158:159], v[72:73], a[188:191]// 000000008184: D3CD80BC 0EF2919E
	buffer_atomic_add_f32 v137, v8, s[32:35], 0 offen          // 00000000818C: E1341000 80088908
	v_mfma_f32_16x16x16_f16 a[192:195], a[144:145], v[74:75], a[192:195]// 000000008194: D3CD80C0 0F029590
	ds_read_b128 v[56:59], v17 offset:19712                    // 00000000819C: D9FE4D00 38000011
	v_mfma_f32_16x16x16_f16 a[196:199], a[146:147], v[74:75], a[196:199]// 0000000081A4: D3CD80C4 0F129592
	v_mfma_f32_16x16x16_f16 a[200:203], a[148:149], v[74:75], a[200:203]// 0000000081AC: D3CD80C8 0F229594
	ds_read_b128 v[60:63], v17 offset:20864                    // 0000000081B4: D9FE5180 3C000011
	v_mfma_f32_16x16x16_f16 a[204:207], a[150:151], v[74:75], a[204:207]// 0000000081BC: D3CD80CC 0F329596
	v_mfma_f32_16x16x16_f16 a[208:211], a[152:153], v[74:75], a[208:211]// 0000000081C4: D3CD80D0 0F429598
	ds_read_b128 v[64:67], v17 offset:22016                    // 0000000081CC: D9FE5600 40000011
	v_mfma_f32_16x16x16_f16 a[212:215], a[154:155], v[74:75], a[212:215]// 0000000081D4: D3CD80D4 0F52959A
	buffer_atomic_add_f32 v138, v7, s[32:35], 0 offen offset:128// 0000000081DC: E1341080 80088A07
	v_mfma_f32_16x16x16_f16 a[216:219], a[156:157], v[74:75], a[216:219]// 0000000081E4: D3CD80D8 0F62959C
	ds_read_b128 v[68:71], v17 offset:23168                    // 0000000081EC: D9FE5A80 44000011
	v_mfma_f32_16x16x16_f16 a[220:223], a[158:159], v[74:75], a[220:223]// 0000000081F4: D3CD80DC 0F72959E
	v_mfma_f32_16x16x16_f16 a[224:227], a[144:145], v[76:77], a[224:227]// 0000000081FC: D3CD80E0 0F829990
	ds_write_b32 v13, v88 offset:13056                         // 000000008204: D81A3300 0000580D
	v_mfma_f32_16x16x16_f16 a[228:231], a[146:147], v[76:77], a[228:231]// 00000000820C: D3CD80E4 0F929992
	v_mfma_f32_16x16x16_f16 a[232:235], a[148:149], v[76:77], a[232:235]// 000000008214: D3CD80E8 0FA29994
	ds_write_b32 v13, v89 offset:14112                         // 00000000821C: D81A3720 0000590D
	v_mfma_f32_16x16x16_f16 a[236:239], a[150:151], v[76:77], a[236:239]// 000000008224: D3CD80EC 0FB29996
	buffer_atomic_add_f32 v139, v8, s[32:35], 0 offen offset:128// 00000000822C: E1341080 80088B08
	v_mfma_f32_16x16x16_f16 a[240:243], a[152:153], v[76:77], a[240:243]// 000000008234: D3CD80F0 0FC29998
	ds_write_b32 v13, v90 offset:13184                         // 00000000823C: D81A3380 00005A0D
	v_mfma_f32_16x16x16_f16 a[244:247], a[154:155], v[76:77], a[244:247]// 000000008244: D3CD80F4 0FD2999A
	v_mfma_f32_16x16x16_f16 a[248:251], a[156:157], v[76:77], a[248:251]// 00000000824C: D3CD80F8 0FE2999C
	ds_write_b32 v13, v91 offset:14240                         // 000000008254: D81A37A0 00005B0D
	v_mfma_f32_16x16x16_f16 a[252:255], a[158:159], v[76:77], a[252:255]// 00000000825C: D3CD80FC 0FF2999E
	s_waitcnt vmcnt(8) lgkmcnt(4)                              // 000000008264: BF8C0478
	s_barrier                                                  // 000000008268: BF8A0000
	v_mfma_f32_16x16x16_f16 v[128:131], v[48:49], a[48:49], 0  // 00000000826C: D3CD0080 12026130
	ds_read_b128 a[144:147], v10                               // 000000008274: DBFE0000 9000000A
	v_mov_b32_e32 v36, 0                                       // 00000000827C: 7E480280
	s_mov_b64 exec, s[86:87]                                   // 000000008280: BEFE0156
	buffer_load_dword v36, v1, s[8:11], 0 idxen                // 000000008284: E0502000 80022401
	s_mov_b64 exec, s[84:85]                                   // 00000000828C: BEFE0154
	v_mfma_f32_16x16x16_f16 v[128:131], v[50:51], a[52:53], v[128:131]// 000000008290: D3CD0080 16026932
	v_mul_f32_e32 v124, s48, v124                              // 000000008298: 0AF8F830
	s_nop 0                                                    // 00000000829C: BF800000
	v_mfma_f32_16x16x16_f16 v[128:131], v[52:53], a[56:57], v[128:131]// 0000000082A0: D3CD0080 16027134
	ds_read_b128 a[148:151], v10 offset:512                    // 0000000082A8: DBFE0200 9400000A
	v_mov_b32_e32 v37, 0                                       // 0000000082B0: 7E4A0280
	s_mov_b64 exec, s[86:87]                                   // 0000000082B4: BEFE0156
	buffer_load_dword v37, v2, s[8:11], 0 idxen                // 0000000082B8: E0502000 80022502
	s_mov_b64 exec, s[84:85]                                   // 0000000082C0: BEFE0154
	v_mfma_f32_16x16x16_f16 v[128:131], v[54:55], a[60:61], v[128:131]// 0000000082C4: D3CD0080 16027936
	v_mfma_f32_16x16x16_f16 v[128:131], v[56:57], a[64:65], v[128:131]// 0000000082CC: D3CD0080 16028138
	ds_read_b128 a[152:155], v10 offset:2176                   // 0000000082D4: DBFE0880 9800000A
	v_mov_b32_e32 v38, 0                                       // 0000000082DC: 7E4C0280
	s_mov_b64 exec, s[86:87]                                   // 0000000082E0: BEFE0156
	buffer_load_dword v38, v3, s[8:11], 0 idxen                // 0000000082E4: E0502000 80022603
	s_mov_b64 exec, s[84:85]                                   // 0000000082EC: BEFE0154
	v_mfma_f32_16x16x16_f16 v[128:131], v[58:59], a[68:69], v[128:131]// 0000000082F0: D3CD0080 1602893A
	v_perm_b32 v84, v33, v32, s63                              // 0000000082F8: D1ED0054 00FE4121
	v_perm_b32 v85, v33, v32, s64                              // 000000008300: D1ED0055 01024121
	v_mfma_f32_16x16x16_f16 v[128:131], v[60:61], a[72:73], v[128:131]// 000000008308: D3CD0080 1602913C
	ds_read_b128 a[156:159], v10 offset:2688                   // 000000008310: DBFE0A80 9C00000A
	v_mov_b32_e32 v39, 0                                       // 000000008318: 7E4E0280
	s_mov_b64 exec, s[86:87]                                   // 00000000831C: BEFE0156
	buffer_load_dword v39, v4, s[8:11], 0 idxen                // 000000008320: E0502000 80022704
	s_mov_b64 exec, s[84:85]                                   // 000000008328: BEFE0154
	v_mfma_f32_16x16x16_f16 v[128:131], v[62:63], a[76:77], v[128:131]// 00000000832C: D3CD0080 1602993E
	v_perm_b32 v86, v35, v34, s63                              // 000000008334: D1ED0056 00FE4523
	v_perm_b32 v87, v35, v34, s64                              // 00000000833C: D1ED0057 01024523
	v_mfma_f32_16x16x16_f16 v[128:131], v[64:65], a[80:81], v[128:131]// 000000008344: D3CD0080 1602A140
	ds_read_b128 v[92:95], v10 offset:8704                     // 00000000834C: D9FE2200 5C00000A
	v_mov_b32_e32 v44, 0                                       // 000000008354: 7E580280
	s_mov_b64 exec, s[86:87]                                   // 000000008358: BEFE0156
	buffer_load_dword v44, v248, s[20:23], 0 idxen             // 00000000835C: E0502000 80052CF8
	s_mov_b64 exec, s[84:85]                                   // 000000008364: BEFE0154
	v_mfma_f32_16x16x16_f16 v[128:131], v[66:67], a[84:85], v[128:131]// 000000008368: D3CD0080 1602A942
	v_perm_b32 v88, v41, v40, s63                              // 000000008370: D1ED0058 00FE5129
	v_perm_b32 v89, v41, v40, s64                              // 000000008378: D1ED0059 01025129
	v_mfma_f32_16x16x16_f16 v[128:131], v[68:69], a[88:89], v[128:131]// 000000008380: D3CD0080 1602B144
	ds_read_b128 v[96:99], v10 offset:9216                     // 000000008388: D9FE2400 6000000A
	v_mov_b32_e32 v45, 0                                       // 000000008390: 7E5A0280
	s_mov_b64 exec, s[86:87]                                   // 000000008394: BEFE0156
	buffer_load_dword v45, v249, s[20:23], 0 idxen             // 000000008398: E0502000 80052DF9
	s_mov_b64 exec, s[84:85]                                   // 0000000083A0: BEFE0154
	v_mfma_f32_16x16x16_f16 v[128:131], v[70:71], a[92:93], v[128:131]// 0000000083A4: D3CD0080 1602B946
	v_perm_b32 v90, v43, v42, s63                              // 0000000083AC: D1ED005A 00FE552B
	v_perm_b32 v91, v43, v42, s64                              // 0000000083B4: D1ED005B 0102552B
	v_mfma_f32_16x16x16_f16 v[132:135], v[48:49], a[50:51], 0  // 0000000083BC: D3CD0084 12026530
	ds_read_b128 v[100:103], v10 offset:10880                  // 0000000083C4: D9FE2A80 6400000A
	v_mov_b32_e32 v46, 0                                       // 0000000083CC: 7E5C0280
	s_mov_b64 exec, s[86:87]                                   // 0000000083D0: BEFE0156
	buffer_load_dword v46, v250, s[20:23], 0 idxen             // 0000000083D4: E0502000 80052EFA
	s_mov_b64 exec, s[84:85]                                   // 0000000083DC: BEFE0154
	v_mfma_f32_16x16x16_f16 v[132:135], v[50:51], a[54:55], v[132:135]// 0000000083E0: D3CD0084 16126D32
	v_mov_b32_dpp v127, v124 quad_perm:[3,3,3,3] row_mask:0xf bank_mask:0xf// 0000000083E8: 7EFE02FA FF00FF7C
	v_mov_b32_dpp v126, v124 quad_perm:[2,2,2,2] row_mask:0xf bank_mask:0xf// 0000000083F0: 7EFC02FA FF00AA7C
	v_mfma_f32_16x16x16_f16 v[132:135], v[52:53], a[58:59], v[132:135]// 0000000083F8: D3CD0084 16127534
	ds_read_b128 v[104:107], v10 offset:11392                  // 000000008400: D9FE2C80 6800000A
	v_mov_b32_e32 v47, 0                                       // 000000008408: 7E5E0280
	s_mov_b64 exec, s[86:87]                                   // 00000000840C: BEFE0156
	buffer_load_dword v47, v251, s[20:23], 0 idxen             // 000000008410: E0502000 80052FFB
	s_mov_b64 exec, s[84:85]                                   // 000000008418: BEFE0154
	v_mfma_f32_16x16x16_f16 v[132:135], v[54:55], a[62:63], v[132:135]// 00000000841C: D3CD0084 16127D36
	v_mov_b32_dpp v125, v124 quad_perm:[1,1,1,1] row_mask:0xf bank_mask:0xf// 000000008424: 7EFA02FA FF00557C
	v_mov_b32_dpp v124, v124 quad_perm:[0,0,0,0] row_mask:0xf bank_mask:0xf// 00000000842C: 7EF802FA FF00007C
	s_add_u32 s60, 64, s59                                     // 000000008434: 803C3BC0
	v_mfma_f32_16x16x16_f16 v[132:135], v[56:57], a[66:67], v[132:135]// 000000008438: D3CD0084 16128538
	buffer_load_dword v9, s[24:27], 0 idxen lds                // 000000008440: E0512000 80060009
	v_mfma_f32_16x16x16_f16 v[132:135], v[58:59], a[70:71], v[132:135]// 000000008448: D3CD0084 16128D3A
	s_cmp_lt_u32 s60, s58                                      // 000000008450: BF0A3A3C
	s_cselect_b32 s68, s68, 0                                  // 000000008454: 85448044
	s_cselect_b32 s95, s95, 0                                  // 000000008458: 855F805F
	s_cselect_b32 s69, s69, 0                                  // 00000000845C: 85458045
	v_mfma_f32_16x16x16_f16 v[132:135], v[60:61], a[74:75], v[132:135]// 000000008460: D3CD0084 1612953C
	v_add_u32_e32 v1, s68, v1                                  // 000000008468: 68020244
	v_add_u32_e32 v2, s68, v2                                  // 00000000846C: 68040444
	v_add_u32_e32 v3, s68, v3                                  // 000000008470: 68060644
	v_add_u32_e32 v4, s68, v4                                  // 000000008474: 68080844
	v_mfma_f32_16x16x16_f16 v[132:135], v[62:63], a[78:79], v[132:135]// 000000008478: D3CD0084 16129D3E
	v_add_u32_e32 v248, s95, v248                              // 000000008480: 69F1F05F
	v_add_u32_e32 v249, s95, v249                              // 000000008484: 69F3F25F
	v_add_u32_e32 v250, s95, v250                              // 000000008488: 69F5F45F
	v_add_u32_e32 v251, s95, v251                              // 00000000848C: 69F7F65F
	v_mfma_f32_16x16x16_f16 v[132:135], v[64:65], a[82:83], v[132:135]// 000000008490: D3CD0084 1612A540
	s_mov_b32 m0, s74                                          // 000000008498: BEFC004A
	v_add_u32_e32 v9, s69, v9                                  // 00000000849C: 68121245
	v_mfma_f32_16x16x16_f16 v[132:135], v[66:67], a[86:87], v[132:135]// 0000000084A0: D3CD0084 1612AD42
	s_cmp_ge_u32 s59, 16                                       // 0000000084A8: BF09903B
	s_cselect_b32 s66, s67, s66                                // 0000000084AC: 85424243
	v_mfma_f32_16x16x16_f16 v[132:135], v[68:69], a[90:91], v[132:135]// 0000000084B0: D3CD0084 1612B544
	s_addk_i32 s59, 0x10                                       // 0000000084B8: B73B0010
	s_nop 0                                                    // 0000000084BC: BF800000
	s_cmp_lt_i32 s59, s58                                      // 0000000084C0: BF043A3B
	v_mfma_f32_16x16x16_f16 v[132:135], v[70:71], a[94:95], v[132:135]// 0000000084C4: D3CD0084 1612BD46
	s_cbranch_scc0 label_0F16                                  // 0000000084CC: BF84FD58
	s_waitcnt lgkmcnt(0)                                       // 0000000084D0: BF8CC07F
	s_barrier                                                  // 0000000084D4: BF8A0000
	v_mfma_f32_16x16x16_f16 v[48:51], a[144:145], a[0:1], 0    // 0000000084D8: D3CD0030 1A020190
	v_mul_f32_e32 v128, s47, v128                              // 0000000084E0: 0B01002F
	v_mul_f32_e32 v129, s47, v129                              // 0000000084E4: 0B03022F
	v_mfma_f32_16x16x16_f16 v[48:51], a[146:147], a[2:3], v[48:51]// 0000000084E8: D3CD0030 1CC20592
	ds_write_b32 v11, v40 offset:8704                          // 0000000084F0: D81A2200 0000280B
	ds_write_b32 v11, v41 offset:9760                          // 0000000084F8: D81A2620 0000290B
	v_mfma_f32_16x16x16_f16 v[48:51], a[148:149], a[4:5], v[48:51]// 000000008500: D3CD0030 1CC20994
	v_mul_f32_e32 v130, s47, v130                              // 000000008508: 0B05042F
	v_mul_f32_e32 v131, s47, v131                              // 00000000850C: 0B07062F
	v_mfma_f32_16x16x16_f16 v[48:51], a[150:151], a[6:7], v[48:51]// 000000008510: D3CD0030 1CC20D96
	ds_write_b32 v11, v42 offset:8832                          // 000000008518: D81A2280 00002A0B
	ds_write_b32 v11, v43 offset:9888                          // 000000008520: D81A26A0 00002B0B
	v_mfma_f32_16x16x16_f16 v[48:51], a[152:153], a[8:9], v[48:51]// 000000008528: D3CD0030 1CC21198
	v_mul_f32_e32 v132, s47, v132                              // 000000008530: 0B09082F
	v_mul_f32_e32 v133, s47, v133                              // 000000008534: 0B0B0A2F
	v_mfma_f32_16x16x16_f16 v[48:51], a[154:155], a[10:11], v[48:51]// 000000008538: D3CD0030 1CC2159A
	ds_write_b64 v20, v[128:129] offset:24320                  // 000000008540: D89A5F00 00008014
	v_mfma_f32_16x16x16_f16 v[48:51], a[156:157], a[12:13], v[48:51]// 000000008548: D3CD0030 1CC2199C
	v_mul_f32_e32 v134, s47, v134                              // 000000008550: 0B0D0C2F
	v_mul_f32_e32 v135, s47, v135                              // 000000008554: 0B0F0E2F
	v_mfma_f32_16x16x16_f16 v[48:51], a[158:159], a[14:15], v[48:51]// 000000008558: D3CD0030 1CC21D9E
	ds_write_b64 v20, v[130:131] offset:24832                  // 000000008560: D89A6100 00008214
	v_mfma_f32_16x16x16_f16 v[52:55], a[144:145], a[16:17], 0  // 000000008568: D3CD0034 1A022190
	buffer_atomic_add_f32 v140, v7, s[32:35], 0 offen offset:256// 000000008570: E1341100 80088C07
	v_mfma_f32_16x16x16_f16 v[52:55], a[146:147], a[18:19], v[52:55]// 000000008578: D3CD0034 1CD22592
	ds_write_b64 v20, v[132:133] offset:25344                  // 000000008580: D89A6300 00008414
	v_mfma_f32_16x16x16_f16 v[52:55], a[148:149], a[20:21], v[52:55]// 000000008588: D3CD0034 1CD22994
	v_mfma_f32_16x16x16_f16 v[52:55], a[150:151], a[22:23], v[52:55]// 000000008590: D3CD0034 1CD22D96
	ds_write_b64 v20, v[134:135] offset:25856                  // 000000008598: D89A6500 00008614
	v_mfma_f32_16x16x16_f16 v[52:55], a[152:153], a[24:25], v[52:55]// 0000000085A0: D3CD0034 1CD23198
	buffer_atomic_add_f32 v141, v8, s[32:35], 0 offen offset:256// 0000000085A8: E1341100 80088D08
	v_mfma_f32_16x16x16_f16 v[52:55], a[154:155], a[26:27], v[52:55]// 0000000085B0: D3CD0034 1CD2359A
	ds_read_b128 v[108:111], v12 offset:13056                  // 0000000085B8: D9FE3300 6C00000C
	ds_write_b32 v11, v32                                      // 0000000085C0: D81A0000 0000200B
	v_mfma_f32_16x16x16_f16 v[52:55], a[156:157], a[28:29], v[52:55]// 0000000085C8: D3CD0034 1CD2399C
	v_mfma_f32_16x16x16_f16 v[52:55], a[158:159], a[30:31], v[52:55]// 0000000085D0: D3CD0034 1CD23D9E
	v_mfma_f32_16x16x16_f16 v[56:59], a[144:145], a[32:33], 0  // 0000000085D8: D3CD0038 1A024190
	ds_read_b128 v[112:115], v12 offset:13568                  // 0000000085E0: D9FE3500 7000000C
	ds_write_b32 v11, v33 offset:1056                          // 0000000085E8: D81A0420 0000210B
	v_mfma_f32_16x16x16_f16 v[56:59], a[146:147], a[34:35], v[56:59]// 0000000085F0: D3CD0038 1CE24592
	buffer_atomic_add_f32 v142, v7, s[32:35], 0 offen offset:384// 0000000085F8: E1341180 80088E07
	v_mfma_f32_16x16x16_f16 v[56:59], a[148:149], a[36:37], v[56:59]// 000000008600: D3CD0038 1CE24994
	v_mfma_f32_16x16x16_f16 v[56:59], a[150:151], a[38:39], v[56:59]// 000000008608: D3CD0038 1CE24D96
	ds_read_b128 v[116:119], v12 offset:15232                  // 000000008610: D9FE3B80 7400000C
	ds_write_b32 v11, v34 offset:128                           // 000000008618: D81A0080 0000220B
	v_mfma_f32_16x16x16_f16 v[56:59], a[152:153], a[40:41], v[56:59]// 000000008620: D3CD0038 1CE25198
	v_mfma_f32_16x16x16_f16 v[56:59], a[154:155], a[42:43], v[56:59]// 000000008628: D3CD0038 1CE2559A
	buffer_atomic_add_f32 v143, v8, s[32:35], 0 offen offset:384// 000000008630: E1341180 80088F08
	v_mfma_f32_16x16x16_f16 v[56:59], a[156:157], a[44:45], v[56:59]// 000000008638: D3CD0038 1CE2599C
	ds_read_b128 v[120:123], v12 offset:15744                  // 000000008640: D9FE3D80 7800000C
	ds_write_b32 v11, v35 offset:1184                          // 000000008648: D81A04A0 0000230B
	v_mfma_f32_16x16x16_f16 v[56:59], a[158:159], a[46:47], v[56:59]// 000000008650: D3CD0038 1CE25D9E
	s_cmp_lt_i32 s97, 0xc0                                     // 000000008658: BF04FF61 000000C0
	s_cbranch_scc0 label_127A                                  // 000000008660: BF84004D
	s_cmp_le_i32 s97, 64                                       // 000000008664: BF05C061
	s_cbranch_scc1 label_1231                                  // 000000008668: BF850007
	s_cmp_le_i32 s97, 0x80                                     // 00000000866C: BF05FF61 00000080
	s_cbranch_scc1 label_1249                                  // 000000008674: BF850017
	s_cmp_lt_i32 s97, 0xc0                                     // 000000008678: BF04FF61 000000C0
	s_cbranch_scc1 label_1261                                  // 000000008680: BF85002C
	s_branch label_127A                                        // 000000008684: BF820044

0000000000008688 <label_1231>:
	s_mov_b32 s60, 0                                           // 000000008688: BEBC0080
	v_and_b32_e32 v28, 15, v0                                  // 00000000868C: 2638008F
	v_add_u32_e64 v28, v28, s60                                // 000000008690: D134001C 0000791C
	v_mul_i32_i24_e64 v29, s46, 16                             // 000000008698: D106001D 0001202E
	v_add_u32_e32 v28, v28, v29                                // 0000000086A0: 68383B1C
	v_cmp_lt_u32_e64 s[60:61], v28, s97                        // 0000000086A4: D0C9003C 0000C31C
	s_nop 1                                                    // 0000000086AC: BF800001
	v_cndmask_b32_e64 v48, v151, v48, s[60:61]                 // 0000000086B0: D1000030 00F26197
	v_cndmask_b32_e64 v49, v151, v49, s[60:61]                 // 0000000086B8: D1000031 00F26397
	v_cndmask_b32_e64 v50, v151, v50, s[60:61]                 // 0000000086C0: D1000032 00F26597
	v_cndmask_b32_e64 v51, v151, v51, s[60:61]                 // 0000000086C8: D1000033 00F26797
	s_branch label_125C                                        // 0000000086D0: BF820013

00000000000086d4 <label_1249>:
	s_mov_b32 s60, 64                                          // 0000000086D4: BEBC00C0
	v_and_b32_e32 v28, 15, v0                                  // 0000000086D8: 2638008F
	v_add_u32_e64 v28, v28, s60                                // 0000000086DC: D134001C 0000791C
	v_mul_i32_i24_e64 v29, s46, 16                             // 0000000086E4: D106001D 0001202E
	v_add_u32_e32 v28, v28, v29                                // 0000000086EC: 68383B1C
	v_cmp_lt_u32_e64 s[60:61], v28, s97                        // 0000000086F0: D0C9003C 0000C31C
	s_nop 1                                                    // 0000000086F8: BF800001
	v_cndmask_b32_e64 v52, v151, v52, s[60:61]                 // 0000000086FC: D1000034 00F26997
	v_cndmask_b32_e64 v53, v151, v53, s[60:61]                 // 000000008704: D1000035 00F26B97
	v_cndmask_b32_e64 v54, v151, v54, s[60:61]                 // 00000000870C: D1000036 00F26D97
	v_cndmask_b32_e64 v55, v151, v55, s[60:61]                 // 000000008714: D1000037 00F26F97
	s_branch label_1275                                        // 00000000871C: BF820019

0000000000008720 <label_125C>:
	v_mov_b32_e32 v52, v151                                    // 000000008720: 7E680397
	v_mov_b32_e32 v53, v151                                    // 000000008724: 7E6A0397
	v_mov_b32_e32 v54, v151                                    // 000000008728: 7E6C0397
	v_mov_b32_e32 v55, v151                                    // 00000000872C: 7E6E0397
	s_branch label_1275                                        // 000000008730: BF820014

0000000000008734 <label_1261>:
	s_mov_b32 s60, 0x80                                        // 000000008734: BEBC00FF 00000080
	v_and_b32_e32 v28, 15, v0                                  // 00000000873C: 2638008F
	v_add_u32_e64 v28, v28, s60                                // 000000008740: D134001C 0000791C
	v_mul_i32_i24_e64 v29, s46, 16                             // 000000008748: D106001D 0001202E
	v_add_u32_e32 v28, v28, v29                                // 000000008750: 68383B1C
	v_cmp_lt_u32_e64 s[60:61], v28, s97                        // 000000008754: D0C9003C 0000C31C
	s_nop 1                                                    // 00000000875C: BF800001
	v_cndmask_b32_e64 v56, v151, v56, s[60:61]                 // 000000008760: D1000038 00F27197
	v_cndmask_b32_e64 v57, v151, v57, s[60:61]                 // 000000008768: D1000039 00F27397
	v_cndmask_b32_e64 v58, v151, v58, s[60:61]                 // 000000008770: D100003A 00F27597
	v_cndmask_b32_e64 v59, v151, v59, s[60:61]                 // 000000008778: D100003B 00F27797
	s_branch label_127A                                        // 000000008780: BF820005

0000000000008784 <label_1275>:
	v_mov_b32_e32 v56, v151                                    // 000000008784: 7E700397
	v_mov_b32_e32 v57, v151                                    // 000000008788: 7E720397
	v_mov_b32_e32 v58, v151                                    // 00000000878C: 7E740397
	v_mov_b32_e32 v59, v151                                    // 000000008790: 7E760397
	s_branch label_127A                                        // 000000008794: BF820000

0000000000008798 <label_127A>:
	s_waitcnt lgkmcnt(8)                                       // 000000008798: BF8CC87F
	s_barrier                                                  // 00000000879C: BF8A0000
	v_mfma_f32_16x16x16_f16 v[72:75], v[92:93], a[96:97], 0    // 0000000087A0: D3CD0048 1202C15C
	v_fma_f32 v48, v48, s57, -v124                             // 0000000087A8: D1CB0030 85F07330
	v_fma_f32 v49, v49, s57, -v125                             // 0000000087B0: D1CB0031 85F47331
	v_fma_f32 v50, v50, s57, -v126                             // 0000000087B8: D1CB0032 85F87332
	v_mfma_f32_16x16x16_f16 v[72:75], v[94:95], a[98:99], v[72:75]// 0000000087C0: D3CD0048 1522C55E
	ds_read_b128 a[144:147], v12 offset:4352                   // 0000000087C8: DBFE1100 9000000C
	ds_read_b128 a[148:151], v12 offset:4864                   // 0000000087D0: DBFE1300 9400000C
	v_mfma_f32_16x16x16_f16 v[72:75], v[96:97], a[100:101], v[72:75]// 0000000087D8: D3CD0048 1522C960
	v_fma_f32 v51, v51, s57, -v127                             // 0000000087E0: D1CB0033 85FC7333
	v_fma_f32 v52, v52, s57, -v124                             // 0000000087E8: D1CB0034 85F07334
	v_fma_f32 v53, v53, s57, -v125                             // 0000000087F0: D1CB0035 85F47335
	v_mfma_f32_16x16x16_f16 v[72:75], v[98:99], a[102:103], v[72:75]// 0000000087F8: D3CD0048 1522CD62
	v_fma_f32 v54, v54, s57, -v126                             // 000000008800: D1CB0036 85F87336
	v_fma_f32 v55, v55, s57, -v127                             // 000000008808: D1CB0037 85FC7337
	v_fma_f32 v56, v56, s57, -v124                             // 000000008810: D1CB0038 85F07338
	v_mfma_f32_16x16x16_f16 v[72:75], v[100:101], a[104:105], v[72:75]// 000000008818: D3CD0048 1522D164
	v_fma_f32 v57, v57, s57, -v125                             // 000000008820: D1CB0039 85F47339
	v_fma_f32 v58, v58, s57, -v126                             // 000000008828: D1CB003A 85F8733A
	v_fma_f32 v59, v59, s57, -v127                             // 000000008830: D1CB003B 85FC733B
	v_mfma_f32_16x16x16_f16 v[72:75], v[102:103], a[106:107], v[72:75]// 000000008838: D3CD0048 1522D566
	ds_read_b128 a[152:155], v12 offset:6528                   // 000000008840: DBFE1980 9800000C
	ds_read_b128 a[156:159], v12 offset:7040                   // 000000008848: DBFE1B80 9C00000C
	v_mfma_f32_16x16x16_f16 v[72:75], v[104:105], a[108:109], v[72:75]// 000000008850: D3CD0048 1522D968
	v_exp_f32_e32 v48, v48                                     // 000000008858: 7E604130
	v_mfma_f32_16x16x16_f16 v[72:75], v[106:107], a[110:111], v[72:75]// 00000000885C: D3CD0048 1522DD6A
	v_exp_f32_e32 v49, v49                                     // 000000008864: 7E624131
	v_mfma_f32_16x16x16_f16 v[76:79], v[92:93], a[112:113], 0  // 000000008868: D3CD004C 1202E15C
	v_exp_f32_e32 v50, v50                                     // 000000008870: 7E644132
	v_mfma_f32_16x16x16_f16 v[76:79], v[94:95], a[114:115], v[76:79]// 000000008874: D3CD004C 1532E55E
	ds_read_b64 v[136:137], v19 offset:24320                   // 00000000887C: D8EC5F00 88000013
	ds_read_b64 v[138:139], v19 offset:26368                   // 000000008884: D8EC6700 8A000013
	v_mfma_f32_16x16x16_f16 v[76:79], v[96:97], a[116:117], v[76:79]// 00000000888C: D3CD004C 1532E960
	v_exp_f32_e32 v51, v51                                     // 000000008894: 7E664133
	v_mfma_f32_16x16x16_f16 v[76:79], v[98:99], a[118:119], v[76:79]// 000000008898: D3CD004C 1532ED62
	ds_read_b64 v[140:141], v19 offset:28416                   // 0000000088A0: D8EC6F00 8C000013
	ds_read_b64 v[142:143], v19 offset:30464                   // 0000000088A8: D8EC7700 8E000013
	v_mfma_f32_16x16x16_f16 v[76:79], v[100:101], a[120:121], v[76:79]// 0000000088B0: D3CD004C 1532F164
	v_exp_f32_e32 v52, v52                                     // 0000000088B8: 7E684134
	v_mfma_f32_16x16x16_f16 v[76:79], v[102:103], a[122:123], v[76:79]// 0000000088BC: D3CD004C 1532F566
	v_exp_f32_e32 v53, v53                                     // 0000000088C4: 7E6A4135
	v_mfma_f32_16x16x16_f16 v[76:79], v[104:105], a[124:125], v[76:79]// 0000000088C8: D3CD004C 1532F968
	v_exp_f32_e32 v54, v54                                     // 0000000088D0: 7E6C4136
	v_mfma_f32_16x16x16_f16 v[76:79], v[106:107], a[126:127], v[76:79]// 0000000088D4: D3CD004C 1532FD6A
	v_exp_f32_e32 v55, v55                                     // 0000000088DC: 7E6E4137
	v_mfma_f32_16x16x16_f16 v[80:83], v[92:93], a[128:129], 0  // 0000000088E0: D3CD0050 1203015C
	v_exp_f32_e32 v56, v56                                     // 0000000088E8: 7E704138
	v_mfma_f32_16x16x16_f16 v[80:83], v[94:95], a[130:131], v[80:83]// 0000000088EC: D3CD0050 1543055E
	v_exp_f32_e32 v57, v57                                     // 0000000088F4: 7E724139
	v_mfma_f32_16x16x16_f16 v[80:83], v[96:97], a[132:133], v[80:83]// 0000000088F8: D3CD0050 15430960
	v_exp_f32_e32 v58, v58                                     // 000000008900: 7E74413A
	v_mfma_f32_16x16x16_f16 v[80:83], v[98:99], a[134:135], v[80:83]// 000000008904: D3CD0050 15430D62
	v_exp_f32_e32 v59, v59                                     // 00000000890C: 7E76413B
	v_mfma_f32_16x16x16_f16 v[80:83], v[100:101], a[136:137], v[80:83]// 000000008910: D3CD0050 15431164
	v_cvt_pkrtz_f16_f32 v144, v48, v49                         // 000000008918: D2960090 00026330
	v_cvt_pkrtz_f16_f32 v145, v50, v51                         // 000000008920: D2960091 00026732
	v_cvt_pkrtz_f16_f32 v146, v52, v53                         // 000000008928: D2960092 00026B34
	v_mfma_f32_16x16x16_f16 v[80:83], v[102:103], a[138:139], v[80:83]// 000000008930: D3CD0050 15431566
	v_cvt_pkrtz_f16_f32 v147, v54, v55                         // 000000008938: D2960093 00026F36
	v_cvt_pkrtz_f16_f32 v148, v56, v57                         // 000000008940: D2960094 00027338
	v_cvt_pkrtz_f16_f32 v149, v58, v59                         // 000000008948: D2960095 0002773A
	v_mfma_f32_16x16x16_f16 v[80:83], v[104:105], a[140:141], v[80:83]// 000000008950: D3CD0050 15431968
	v_add_u32_e32 v7, s66, v7                                  // 000000008958: 680E0E42
	v_add_u32_e32 v8, s66, v8                                  // 00000000895C: 68101042
	v_mfma_f32_16x16x16_f16 v[80:83], v[106:107], a[142:143], v[80:83]// 000000008960: D3CD0050 15431D6A
	s_waitcnt lgkmcnt(0)                                       // 000000008968: BF8CC07F
	s_barrier                                                  // 00000000896C: BF8A0000
	v_mfma_f32_16x16x16_f16 v[152:155], v[108:109], v[144:145], v[152:155]// 000000008970: D3CD0098 0663216C
	v_subrev_f32_dpp v72, v150, v72 quad_perm:[0,0,0,0] row_mask:0xf bank_mask:0xf// 000000008978: 069090FA FF000096
	v_subrev_f32_dpp v73, v150, v73 quad_perm:[1,1,1,1] row_mask:0xf bank_mask:0xf// 000000008980: 069292FA FF005596
	v_subrev_f32_dpp v74, v150, v74 quad_perm:[2,2,2,2] row_mask:0xf bank_mask:0xf// 000000008988: 069494FA FF00AA96
	v_mfma_f32_16x16x16_f16 v[156:159], v[110:111], v[144:145], v[156:159]// 000000008990: D3CD009C 0673216E
	v_subrev_f32_dpp v75, v150, v75 quad_perm:[3,3,3,3] row_mask:0xf bank_mask:0xf// 000000008998: 069696FA FF00FF96
	v_subrev_f32_dpp v76, v150, v76 quad_perm:[0,0,0,0] row_mask:0xf bank_mask:0xf// 0000000089A0: 069898FA FF000096
	v_subrev_f32_dpp v77, v150, v77 quad_perm:[1,1,1,1] row_mask:0xf bank_mask:0xf// 0000000089A8: 069A9AFA FF005596
	v_mfma_f32_16x16x16_f16 v[160:163], v[112:113], v[144:145], v[160:163]// 0000000089B0: D3CD00A0 06832170
	v_mul_f32_e32 v72, v48, v72                                // 0000000089B8: 0A909130
	v_mul_f32_e32 v73, v49, v73                                // 0000000089BC: 0A929331
	v_mul_f32_e32 v74, v50, v74                                // 0000000089C0: 0A949532
	v_mfma_f32_16x16x16_f16 v[164:167], v[114:115], v[144:145], v[164:167]// 0000000089C4: D3CD00A4 06932172
	v_mul_f32_e32 v75, v51, v75                                // 0000000089CC: 0A969733
	v_mul_f32_e32 v76, v52, v76                                // 0000000089D0: 0A989934
	v_mul_f32_e32 v77, v53, v77                                // 0000000089D4: 0A9A9B35
	v_mfma_f32_16x16x16_f16 v[168:171], v[116:117], v[144:145], v[168:171]// 0000000089D8: D3CD00A8 06A32174
	v_cvt_pkrtz_f16_f32 v72, v72, v73                          // 0000000089E0: D2960048 00029348
	v_cvt_pkrtz_f16_f32 v73, v74, v75                          // 0000000089E8: D2960049 0002974A
	v_cvt_pkrtz_f16_f32 v74, v76, v77                          // 0000000089F0: D296004A 00029B4C
	v_mfma_f32_16x16x16_f16 v[172:175], v[118:119], v[144:145], v[172:175]// 0000000089F8: D3CD00AC 06B32176
	v_mov_b32_dpp v16, v72 quad_perm:[1,0,3,2] row_mask:0xf bank_mask:0xf// 000000008A00: 7E2002FA FF00B148
	v_perm_b32 v48, v16, v72, v15                              // 000000008A08: D1ED0030 043E9110
	v_mov_b32_dpp v16, v73 quad_perm:[1,0,3,2] row_mask:0xf bank_mask:0xf// 000000008A10: 7E2002FA FF00B149
	v_mfma_f32_16x16x16_f16 v[176:179], v[120:121], v[144:145], v[176:179]// 000000008A18: D3CD00B0 06C32178
	ds_write_b32 v18, v48 offset:17408                         // 000000008A20: D81A4400 00003012
	v_mfma_f32_16x16x16_f16 v[180:183], v[122:123], v[144:145], v[180:183]// 000000008A28: D3CD00B4 06D3217A
	v_perm_b32 v49, v16, v73, v15                              // 000000008A30: D1ED0031 043E9310
	v_mov_b32_dpp v16, v74 quad_perm:[1,0,3,2] row_mask:0xf bank_mask:0xf// 000000008A38: 7E2002FA FF00B14A
	v_perm_b32 v50, v16, v74, v15                              // 000000008A40: D1ED0032 043E9510
	v_mfma_f32_16x16x16_f16 v[184:187], v[108:109], v[146:147], v[184:187]// 000000008A48: D3CD00B8 06E3256C
	ds_write_b32 v18, v49 offset:17952                         // 000000008A50: D81A4620 00003112
	v_mfma_f32_16x16x16_f16 v[188:191], v[110:111], v[146:147], v[188:191]// 000000008A58: D3CD00BC 06F3256E
	v_subrev_f32_dpp v78, v150, v78 quad_perm:[2,2,2,2] row_mask:0xf bank_mask:0xf// 000000008A60: 069C9CFA FF00AA96
	v_subrev_f32_dpp v79, v150, v79 quad_perm:[3,3,3,3] row_mask:0xf bank_mask:0xf// 000000008A68: 069E9EFA FF00FF96
	v_subrev_f32_dpp v80, v150, v80 quad_perm:[0,0,0,0] row_mask:0xf bank_mask:0xf// 000000008A70: 06A0A0FA FF000096
	v_mfma_f32_16x16x16_f16 v[192:195], v[112:113], v[146:147], v[192:195]// 000000008A78: D3CD00C0 07032570
	ds_write_b32 v18, v50 offset:19712                         // 000000008A80: D81A4D00 00003212
	v_mfma_f32_16x16x16_f16 v[196:199], v[114:115], v[146:147], v[196:199]// 000000008A88: D3CD00C4 07132572
	v_subrev_f32_dpp v81, v150, v81 quad_perm:[1,1,1,1] row_mask:0xf bank_mask:0xf// 000000008A90: 06A2A2FA FF005596
	v_subrev_f32_dpp v82, v150, v82 quad_perm:[2,2,2,2] row_mask:0xf bank_mask:0xf// 000000008A98: 06A4A4FA FF00AA96
	v_subrev_f32_dpp v83, v150, v83 quad_perm:[3,3,3,3] row_mask:0xf bank_mask:0xf// 000000008AA0: 06A6A6FA FF00FF96
	v_mfma_f32_16x16x16_f16 v[200:203], v[116:117], v[146:147], v[200:203]// 000000008AA8: D3CD00C8 07232574
	v_mul_f32_e32 v78, v54, v78                                // 000000008AB0: 0A9C9D36
	v_mul_f32_e32 v79, v55, v79                                // 000000008AB4: 0A9E9F37
	v_mul_f32_e32 v80, v56, v80                                // 000000008AB8: 0AA0A138
	v_mfma_f32_16x16x16_f16 v[204:207], v[118:119], v[146:147], v[204:207]// 000000008ABC: D3CD00CC 07332576
	v_mul_f32_e32 v81, v57, v81                                // 000000008AC4: 0AA2A339
	v_mul_f32_e32 v82, v58, v82                                // 000000008AC8: 0AA4A53A
	v_mul_f32_e32 v83, v59, v83                                // 000000008ACC: 0AA6A73B
	v_mfma_f32_16x16x16_f16 v[208:211], v[120:121], v[146:147], v[208:211]// 000000008AD0: D3CD00D0 07432578
	v_cvt_pkrtz_f16_f32 v75, v78, v79                          // 000000008AD8: D296004B 00029F4E
	v_cvt_pkrtz_f16_f32 v76, v80, v81                          // 000000008AE0: D296004C 0002A350
	v_cvt_pkrtz_f16_f32 v77, v82, v83                          // 000000008AE8: D296004D 0002A752
	v_mfma_f32_16x16x16_f16 v[212:215], v[122:123], v[146:147], v[212:215]// 000000008AF0: D3CD00D4 0753257A
	v_mov_b32_dpp v16, v75 quad_perm:[1,0,3,2] row_mask:0xf bank_mask:0xf// 000000008AF8: 7E2002FA FF00B14B
	v_perm_b32 v51, v16, v75, v15                              // 000000008B00: D1ED0033 043E9710
	v_mov_b32_dpp v16, v76 quad_perm:[1,0,3,2] row_mask:0xf bank_mask:0xf// 000000008B08: 7E2002FA FF00B14C
	v_mfma_f32_16x16x16_f16 v[216:219], v[108:109], v[148:149], v[216:219]// 000000008B10: D3CD00D8 0763296C
	ds_write_b32 v18, v51 offset:20256                         // 000000008B18: D81A4F20 00003312
	v_mfma_f32_16x16x16_f16 v[220:223], v[110:111], v[148:149], v[220:223]// 000000008B20: D3CD00DC 0773296E
	v_perm_b32 v52, v16, v76, v15                              // 000000008B28: D1ED0034 043E9910
	v_mov_b32_dpp v16, v77 quad_perm:[1,0,3,2] row_mask:0xf bank_mask:0xf// 000000008B30: 7E2002FA FF00B14D
	v_perm_b32 v53, v16, v77, v15                              // 000000008B38: D1ED0035 043E9B10
	v_mfma_f32_16x16x16_f16 v[224:227], v[112:113], v[148:149], v[224:227]// 000000008B40: D3CD00E0 07832970
	ds_write_b32 v18, v52 offset:22016                         // 000000008B48: D81A5600 00003412
	ds_write_b32 v18, v53 offset:22560                         // 000000008B50: D81A5820 00003512
	v_mfma_f32_16x16x16_f16 v[228:231], v[114:115], v[148:149], v[228:231]// 000000008B58: D3CD00E4 07932972
	v_mfma_f32_16x16x16_f16 v[232:235], v[116:117], v[148:149], v[232:235]// 000000008B60: D3CD00E8 07A32974
	ds_write_b32 v13, v84 offset:4352                          // 000000008B68: D81A1100 0000540D
	ds_write_b32 v13, v85 offset:5408                          // 000000008B70: D81A1520 0000550D
	v_mfma_f32_16x16x16_f16 v[236:239], v[118:119], v[148:149], v[236:239]// 000000008B78: D3CD00EC 07B32976
	v_mfma_f32_16x16x16_f16 v[240:243], v[120:121], v[148:149], v[240:243]// 000000008B80: D3CD00F0 07C32978
	ds_write_b32 v13, v86 offset:4480                          // 000000008B88: D81A1180 0000560D
	ds_write_b32 v13, v87 offset:5536                          // 000000008B90: D81A15A0 0000570D
	v_mfma_f32_16x16x16_f16 v[244:247], v[122:123], v[148:149], v[244:247]// 000000008B98: D3CD00F4 07D3297A
	s_nop 0                                                    // 000000008BA0: BF800000
	s_nop 0                                                    // 000000008BA4: BF800000
	s_nop 0                                                    // 000000008BA8: BF800000
	s_barrier                                                  // 000000008BAC: BF8A0000
	v_mfma_f32_16x16x16_f16 a[160:163], a[144:145], v[72:73], a[160:163]// 000000008BB0: D3CD80A0 0E829190
	ds_read_b32 v124, v21 offset:50688                         // 000000008BB8: D86CC600 7C000015
	ds_read_b32 v150, v21 offset:50944                         // 000000008BC0: D86CC700 96000015
	v_mfma_f32_16x16x16_f16 a[164:167], a[146:147], v[72:73], a[164:167]// 000000008BC8: D3CD80A4 0E929192
	buffer_atomic_add_f32 v136, v7, s[32:35], 0 offen          // 000000008BD0: E1341000 80088807
	v_mfma_f32_16x16x16_f16 a[168:171], a[148:149], v[72:73], a[168:171]// 000000008BD8: D3CD80A8 0EA29194
	s_waitcnt lgkmcnt(6)                                       // 000000008BE0: BF8CC67F
	s_barrier                                                  // 000000008BE4: BF8A0000
	v_mfma_f32_16x16x16_f16 a[172:175], a[150:151], v[72:73], a[172:175]// 000000008BE8: D3CD80AC 0EB29196
	v_mfma_f32_16x16x16_f16 a[176:179], a[152:153], v[72:73], a[176:179]// 000000008BF0: D3CD80B0 0EC29198
	ds_read_b128 v[48:51], v17 offset:17408                    // 000000008BF8: D9FE4400 30000011
	v_mfma_f32_16x16x16_f16 a[180:183], a[154:155], v[72:73], a[180:183]// 000000008C00: D3CD80B4 0ED2919A
	v_mfma_f32_16x16x16_f16 a[184:187], a[156:157], v[72:73], a[184:187]// 000000008C08: D3CD80B8 0EE2919C
	ds_read_b128 v[52:55], v17 offset:18560                    // 000000008C10: D9FE4880 34000011
	v_mfma_f32_16x16x16_f16 a[188:191], a[158:159], v[72:73], a[188:191]// 000000008C18: D3CD80BC 0EF2919E
	buffer_atomic_add_f32 v137, v8, s[32:35], 0 offen          // 000000008C20: E1341000 80088908
	v_mfma_f32_16x16x16_f16 a[192:195], a[144:145], v[74:75], a[192:195]// 000000008C28: D3CD80C0 0F029590
	ds_read_b128 v[56:59], v17 offset:19712                    // 000000008C30: D9FE4D00 38000011
	v_mfma_f32_16x16x16_f16 a[196:199], a[146:147], v[74:75], a[196:199]// 000000008C38: D3CD80C4 0F129592
	v_mfma_f32_16x16x16_f16 a[200:203], a[148:149], v[74:75], a[200:203]// 000000008C40: D3CD80C8 0F229594
	ds_read_b128 v[60:63], v17 offset:20864                    // 000000008C48: D9FE5180 3C000011
	v_mfma_f32_16x16x16_f16 a[204:207], a[150:151], v[74:75], a[204:207]// 000000008C50: D3CD80CC 0F329596
	v_mfma_f32_16x16x16_f16 a[208:211], a[152:153], v[74:75], a[208:211]// 000000008C58: D3CD80D0 0F429598
	ds_read_b128 v[64:67], v17 offset:22016                    // 000000008C60: D9FE5600 40000011
	v_mfma_f32_16x16x16_f16 a[212:215], a[154:155], v[74:75], a[212:215]// 000000008C68: D3CD80D4 0F52959A
	buffer_atomic_add_f32 v138, v7, s[32:35], 0 offen offset:128// 000000008C70: E1341080 80088A07
	v_mfma_f32_16x16x16_f16 a[216:219], a[156:157], v[74:75], a[216:219]// 000000008C78: D3CD80D8 0F62959C
	ds_read_b128 v[68:71], v17 offset:23168                    // 000000008C80: D9FE5A80 44000011
	v_mfma_f32_16x16x16_f16 a[220:223], a[158:159], v[74:75], a[220:223]// 000000008C88: D3CD80DC 0F72959E
	v_mfma_f32_16x16x16_f16 a[224:227], a[144:145], v[76:77], a[224:227]// 000000008C90: D3CD80E0 0F829990
	ds_write_b32 v13, v88 offset:13056                         // 000000008C98: D81A3300 0000580D
	v_mfma_f32_16x16x16_f16 a[228:231], a[146:147], v[76:77], a[228:231]// 000000008CA0: D3CD80E4 0F929992
	v_mfma_f32_16x16x16_f16 a[232:235], a[148:149], v[76:77], a[232:235]// 000000008CA8: D3CD80E8 0FA29994
	ds_write_b32 v13, v89 offset:14112                         // 000000008CB0: D81A3720 0000590D
	v_mfma_f32_16x16x16_f16 a[236:239], a[150:151], v[76:77], a[236:239]// 000000008CB8: D3CD80EC 0FB29996
	buffer_atomic_add_f32 v139, v8, s[32:35], 0 offen offset:128// 000000008CC0: E1341080 80088B08
	v_mfma_f32_16x16x16_f16 a[240:243], a[152:153], v[76:77], a[240:243]// 000000008CC8: D3CD80F0 0FC29998
	ds_write_b32 v13, v90 offset:13184                         // 000000008CD0: D81A3380 00005A0D
	v_mfma_f32_16x16x16_f16 a[244:247], a[154:155], v[76:77], a[244:247]// 000000008CD8: D3CD80F4 0FD2999A
	v_mfma_f32_16x16x16_f16 a[248:251], a[156:157], v[76:77], a[248:251]// 000000008CE0: D3CD80F8 0FE2999C
	ds_write_b32 v13, v91 offset:14240                         // 000000008CE8: D81A37A0 00005B0D
	v_mfma_f32_16x16x16_f16 a[252:255], a[158:159], v[76:77], a[252:255]// 000000008CF0: D3CD80FC 0FF2999E
	s_waitcnt vmcnt(8) lgkmcnt(4)                              // 000000008CF8: BF8C0478
	s_barrier                                                  // 000000008CFC: BF8A0000
	v_mfma_f32_16x16x16_f16 v[128:131], v[48:49], a[48:49], 0  // 000000008D00: D3CD0080 12026130
	ds_read_b128 a[144:147], v10                               // 000000008D08: DBFE0000 9000000A
	v_mov_b32_e32 v32, 0                                       // 000000008D10: 7E400280
	s_mov_b64 exec, s[86:87]                                   // 000000008D14: BEFE0156
	buffer_load_dword v32, v1, s[8:11], 0 idxen                // 000000008D18: E0502000 80022001
	s_mov_b64 exec, s[84:85]                                   // 000000008D20: BEFE0154
	v_mfma_f32_16x16x16_f16 v[128:131], v[50:51], a[52:53], v[128:131]// 000000008D24: D3CD0080 16026932
	v_mul_f32_e32 v124, s48, v124                              // 000000008D2C: 0AF8F830
	s_nop 0                                                    // 000000008D30: BF800000
	v_mfma_f32_16x16x16_f16 v[128:131], v[52:53], a[56:57], v[128:131]// 000000008D34: D3CD0080 16027134
	ds_read_b128 a[148:151], v10 offset:512                    // 000000008D3C: DBFE0200 9400000A
	v_mov_b32_e32 v33, 0                                       // 000000008D44: 7E420280
	s_mov_b64 exec, s[86:87]                                   // 000000008D48: BEFE0156
	buffer_load_dword v33, v2, s[8:11], 0 idxen                // 000000008D4C: E0502000 80022102
	s_mov_b64 exec, s[84:85]                                   // 000000008D54: BEFE0154
	v_mfma_f32_16x16x16_f16 v[128:131], v[54:55], a[60:61], v[128:131]// 000000008D58: D3CD0080 16027936
	v_mfma_f32_16x16x16_f16 v[128:131], v[56:57], a[64:65], v[128:131]// 000000008D60: D3CD0080 16028138
	ds_read_b128 a[152:155], v10 offset:2176                   // 000000008D68: DBFE0880 9800000A
	v_mov_b32_e32 v34, 0                                       // 000000008D70: 7E440280
	s_mov_b64 exec, s[86:87]                                   // 000000008D74: BEFE0156
	buffer_load_dword v34, v3, s[8:11], 0 idxen                // 000000008D78: E0502000 80022203
	s_mov_b64 exec, s[84:85]                                   // 000000008D80: BEFE0154
	v_mfma_f32_16x16x16_f16 v[128:131], v[58:59], a[68:69], v[128:131]// 000000008D84: D3CD0080 1602893A
	v_perm_b32 v84, v37, v36, s63                              // 000000008D8C: D1ED0054 00FE4925
	v_perm_b32 v85, v37, v36, s64                              // 000000008D94: D1ED0055 01024925
	v_mfma_f32_16x16x16_f16 v[128:131], v[60:61], a[72:73], v[128:131]// 000000008D9C: D3CD0080 1602913C
	ds_read_b128 a[156:159], v10 offset:2688                   // 000000008DA4: DBFE0A80 9C00000A
	v_mov_b32_e32 v35, 0                                       // 000000008DAC: 7E460280
	s_mov_b64 exec, s[86:87]                                   // 000000008DB0: BEFE0156
	buffer_load_dword v35, v4, s[8:11], 0 idxen                // 000000008DB4: E0502000 80022304
	s_mov_b64 exec, s[84:85]                                   // 000000008DBC: BEFE0154
	v_mfma_f32_16x16x16_f16 v[128:131], v[62:63], a[76:77], v[128:131]// 000000008DC0: D3CD0080 1602993E
	v_perm_b32 v86, v39, v38, s63                              // 000000008DC8: D1ED0056 00FE4D27
	v_perm_b32 v87, v39, v38, s64                              // 000000008DD0: D1ED0057 01024D27
	v_mfma_f32_16x16x16_f16 v[128:131], v[64:65], a[80:81], v[128:131]// 000000008DD8: D3CD0080 1602A140
	ds_read_b128 v[92:95], v10 offset:8704                     // 000000008DE0: D9FE2200 5C00000A
	v_mov_b32_e32 v40, 0                                       // 000000008DE8: 7E500280
	s_mov_b64 exec, s[86:87]                                   // 000000008DEC: BEFE0156
	buffer_load_dword v40, v248, s[20:23], 0 idxen             // 000000008DF0: E0502000 800528F8
	s_mov_b64 exec, s[84:85]                                   // 000000008DF8: BEFE0154
	v_mfma_f32_16x16x16_f16 v[128:131], v[66:67], a[84:85], v[128:131]// 000000008DFC: D3CD0080 1602A942
	v_perm_b32 v88, v45, v44, s63                              // 000000008E04: D1ED0058 00FE592D
	v_perm_b32 v89, v45, v44, s64                              // 000000008E0C: D1ED0059 0102592D
	v_mfma_f32_16x16x16_f16 v[128:131], v[68:69], a[88:89], v[128:131]// 000000008E14: D3CD0080 1602B144
	ds_read_b128 v[96:99], v10 offset:9216                     // 000000008E1C: D9FE2400 6000000A
	v_mov_b32_e32 v41, 0                                       // 000000008E24: 7E520280
	s_mov_b64 exec, s[86:87]                                   // 000000008E28: BEFE0156
	buffer_load_dword v41, v249, s[20:23], 0 idxen             // 000000008E2C: E0502000 800529F9
	s_mov_b64 exec, s[84:85]                                   // 000000008E34: BEFE0154
	v_mfma_f32_16x16x16_f16 v[128:131], v[70:71], a[92:93], v[128:131]// 000000008E38: D3CD0080 1602B946
	v_perm_b32 v90, v47, v46, s63                              // 000000008E40: D1ED005A 00FE5D2F
	v_perm_b32 v91, v47, v46, s64                              // 000000008E48: D1ED005B 01025D2F
	v_mfma_f32_16x16x16_f16 v[132:135], v[48:49], a[50:51], 0  // 000000008E50: D3CD0084 12026530
	ds_read_b128 v[100:103], v10 offset:10880                  // 000000008E58: D9FE2A80 6400000A
	v_mov_b32_e32 v42, 0                                       // 000000008E60: 7E540280
	s_mov_b64 exec, s[86:87]                                   // 000000008E64: BEFE0156
	buffer_load_dword v42, v250, s[20:23], 0 idxen             // 000000008E68: E0502000 80052AFA
	s_mov_b64 exec, s[84:85]                                   // 000000008E70: BEFE0154
	v_mfma_f32_16x16x16_f16 v[132:135], v[50:51], a[54:55], v[132:135]// 000000008E74: D3CD0084 16126D32
	v_mov_b32_dpp v127, v124 quad_perm:[3,3,3,3] row_mask:0xf bank_mask:0xf// 000000008E7C: 7EFE02FA FF00FF7C
	v_mov_b32_dpp v126, v124 quad_perm:[2,2,2,2] row_mask:0xf bank_mask:0xf// 000000008E84: 7EFC02FA FF00AA7C
	v_mfma_f32_16x16x16_f16 v[132:135], v[52:53], a[58:59], v[132:135]// 000000008E8C: D3CD0084 16127534
	ds_read_b128 v[104:107], v10 offset:11392                  // 000000008E94: D9FE2C80 6800000A
	v_mov_b32_e32 v43, 0                                       // 000000008E9C: 7E560280
	s_mov_b64 exec, s[86:87]                                   // 000000008EA0: BEFE0156
	buffer_load_dword v43, v251, s[20:23], 0 idxen             // 000000008EA4: E0502000 80052BFB
	s_mov_b64 exec, s[84:85]                                   // 000000008EAC: BEFE0154
	v_mfma_f32_16x16x16_f16 v[132:135], v[54:55], a[62:63], v[132:135]// 000000008EB0: D3CD0084 16127D36
	v_mov_b32_dpp v125, v124 quad_perm:[1,1,1,1] row_mask:0xf bank_mask:0xf// 000000008EB8: 7EFA02FA FF00557C
	v_mov_b32_dpp v124, v124 quad_perm:[0,0,0,0] row_mask:0xf bank_mask:0xf// 000000008EC0: 7EF802FA FF00007C
	s_add_u32 s60, 64, s59                                     // 000000008EC8: 803C3BC0
	v_mfma_f32_16x16x16_f16 v[132:135], v[56:57], a[66:67], v[132:135]// 000000008ECC: D3CD0084 16128538
	buffer_load_dword v9, s[24:27], 0 idxen lds                // 000000008ED4: E0512000 80060009
	v_mfma_f32_16x16x16_f16 v[132:135], v[58:59], a[70:71], v[132:135]// 000000008EDC: D3CD0084 16128D3A
	s_cmp_lt_u32 s60, s58                                      // 000000008EE4: BF0A3A3C
	s_cselect_b32 s68, s68, 0                                  // 000000008EE8: 85448044
	s_cselect_b32 s95, s95, 0                                  // 000000008EEC: 855F805F
	s_cselect_b32 s69, s69, 0                                  // 000000008EF0: 85458045
	v_mfma_f32_16x16x16_f16 v[132:135], v[60:61], a[74:75], v[132:135]// 000000008EF4: D3CD0084 1612953C
	v_add_u32_e32 v1, s68, v1                                  // 000000008EFC: 68020244
	v_add_u32_e32 v2, s68, v2                                  // 000000008F00: 68040444
	v_add_u32_e32 v3, s68, v3                                  // 000000008F04: 68060644
	v_add_u32_e32 v4, s68, v4                                  // 000000008F08: 68080844
	v_mfma_f32_16x16x16_f16 v[132:135], v[62:63], a[78:79], v[132:135]// 000000008F0C: D3CD0084 16129D3E
	v_add_u32_e32 v248, s95, v248                              // 000000008F14: 69F1F05F
	v_add_u32_e32 v249, s95, v249                              // 000000008F18: 69F3F25F
	v_add_u32_e32 v250, s95, v250                              // 000000008F1C: 69F5F45F
	v_add_u32_e32 v251, s95, v251                              // 000000008F20: 69F7F65F
	v_mfma_f32_16x16x16_f16 v[132:135], v[64:65], a[82:83], v[132:135]// 000000008F24: D3CD0084 1612A540
	s_mov_b32 m0, s75                                          // 000000008F2C: BEFC004B
	v_add_u32_e32 v9, s69, v9                                  // 000000008F30: 68121245
	v_mfma_f32_16x16x16_f16 v[132:135], v[66:67], a[86:87], v[132:135]// 000000008F34: D3CD0084 1612AD42
	s_cmp_ge_u32 s59, 16                                       // 000000008F3C: BF09903B
	s_cselect_b32 s66, s67, s66                                // 000000008F40: 85424243
	v_mfma_f32_16x16x16_f16 v[132:135], v[68:69], a[90:91], v[132:135]// 000000008F44: D3CD0084 1612B544
	s_addk_i32 s59, 0x10                                       // 000000008F4C: B73B0010
	s_nop 0                                                    // 000000008F50: BF800000
	s_cmp_lt_i32 s59, s58                                      // 000000008F54: BF043A3B
	v_mfma_f32_16x16x16_f16 v[132:135], v[70:71], a[94:95], v[132:135]// 000000008F58: D3CD0084 1612BD46
	s_cbranch_scc0 label_0F16                                  // 000000008F60: BF84FAB3
	s_branch label_0F19                                        // 000000008F64: BF82FAB5

0000000000008f68 <label_146E>:
	buffer_atomic_add_f32 v140, v7, s[32:35], 0 offen offset:256// 000000008F68: E1341100 80088C07
	buffer_atomic_add_f32 v141, v8, s[32:35], 0 offen offset:256// 000000008F70: E1341100 80088D08
	buffer_atomic_add_f32 v142, v7, s[32:35], 0 offen offset:384// 000000008F78: E1341180 80088E07
	buffer_atomic_add_f32 v143, v8, s[32:35], 0 offen offset:384// 000000008F80: E1341180 80088F08
	v_add_u32_e32 v7, s66, v7                                  // 000000008F88: 680E0E42
	v_add_u32_e32 v8, s66, v8                                  // 000000008F8C: 68101042
	v_lshrrev_b32_e32 v28, 5, v0                               // 000000008F90: 20380085
	v_mul_i32_i24_e32 v25, 0x42, v28                           // 000000008F94: 0C3238FF 00000042
	v_and_b32_e32 v28, 31, v0                                  // 000000008F9C: 2638009F
	v_mul_i32_i24_e32 v29, 2, v28                              // 000000008FA0: 0C3A3882
	v_add_u32_e32 v25, v29, v25                                // 000000008FA4: 6832331D
	s_mul_i32 s60, s46, 0x420                                  // 000000008FA8: 923CFF2E 00000420
	v_add_u32_e32 v25, s60, v25                                // 000000008FB0: 6832323C
	v_lshlrev_b32_e32 v25, 2, v25                              // 000000008FB4: 24323282
	v_mul_f32_e32 v128, s47, v128                              // 000000008FB8: 0B01002F
	v_mul_f32_e32 v129, s47, v129                              // 000000008FBC: 0B03022F
	v_mul_f32_e32 v130, s47, v130                              // 000000008FC0: 0B05042F
	v_mul_f32_e32 v131, s47, v131                              // 000000008FC4: 0B07062F
	v_mul_f32_e32 v132, s47, v132                              // 000000008FC8: 0B09082F
	v_mul_f32_e32 v133, s47, v133                              // 000000008FCC: 0B0B0A2F
	v_mul_f32_e32 v134, s47, v134                              // 000000008FD0: 0B0D0C2F
	v_mul_f32_e32 v135, s47, v135                              // 000000008FD4: 0B0F0E2F
	ds_write_b64 v20, v[128:129] offset:24320                  // 000000008FD8: D89A5F00 00008014
	ds_write_b64 v20, v[130:131] offset:24832                  // 000000008FE0: D89A6100 00008214
	ds_write_b64 v20, v[132:133] offset:25344                  // 000000008FE8: D89A6300 00008414
	ds_write_b64 v20, v[134:135] offset:25856                  // 000000008FF0: D89A6500 00008614
	s_waitcnt lgkmcnt(0)                                       // 000000008FF8: BF8CC07F
	s_barrier                                                  // 000000008FFC: BF8A0000
	ds_read_b64 v[136:137], v19 offset:24320                   // 000000009000: D8EC5F00 88000013
	ds_read_b64 v[138:139], v19 offset:26368                   // 000000009008: D8EC6700 8A000013
	ds_read_b64 v[140:141], v19 offset:28416                   // 000000009010: D8EC6F00 8C000013
	ds_read_b64 v[142:143], v19 offset:30464                   // 000000009018: D8EC7700 8E000013
	s_waitcnt lgkmcnt(0)                                       // 000000009020: BF8CC07F
	s_barrier                                                  // 000000009024: BF8A0000
	buffer_atomic_add_f32 v136, v7, s[32:35], 0 offen          // 000000009028: E1341000 80088807
	buffer_atomic_add_f32 v137, v8, s[32:35], 0 offen          // 000000009030: E1341000 80088908
	buffer_atomic_add_f32 v138, v7, s[32:35], 0 offen offset:128// 000000009038: E1341080 80088A07
	buffer_atomic_add_f32 v139, v8, s[32:35], 0 offen offset:128// 000000009040: E1341080 80088B08
	buffer_atomic_add_f32 v140, v7, s[32:35], 0 offen offset:256// 000000009048: E1341100 80088C07
	buffer_atomic_add_f32 v141, v8, s[32:35], 0 offen offset:256// 000000009050: E1341100 80088D08
	buffer_atomic_add_f32 v142, v7, s[32:35], 0 offen offset:384// 000000009058: E1341180 80088E07
	buffer_atomic_add_f32 v143, v8, s[32:35], 0 offen offset:384// 000000009060: E1341180 80088F08
	v_lshrrev_b32_e32 v28, 4, v0                               // 000000009068: 20380084
	v_mul_i32_i24_e32 v24, 2, v28                              // 00000000906C: 0C303882
	v_and_b32_e32 v28, 15, v0                                  // 000000009070: 2638008F
	v_mul_i32_i24_e32 v29, 0x42, v28                           // 000000009074: 0C3A38FF 00000042
	v_add_u32_e32 v24, v29, v24                                // 00000000907C: 6830311D
	s_mul_i32 s60, s46, 0x420                                  // 000000009080: 923CFF2E 00000420
	v_add_u32_e32 v24, s60, v24                                // 000000009088: 6830303C
	v_lshlrev_b32_e32 v24, 2, v24                              // 00000000908C: 24303082
	v_accvgpr_read_b32 v28, a160                               // 000000009090: D3D8401C 180001A0
	v_accvgpr_read_b32 v29, a161                               // 000000009098: D3D8401D 180001A1
	v_mul_f32_e32 v28, s47, v28                                // 0000000090A0: 0A38382F
	v_mul_f32_e32 v29, s47, v29                                // 0000000090A4: 0A3A3A2F
	v_cvt_pkrtz_f16_f32 v48, v28, v29                          // 0000000090A8: D2960030 00023B1C
	v_accvgpr_read_b32 v28, a162                               // 0000000090B0: D3D8401C 180001A2
	v_accvgpr_read_b32 v29, a163                               // 0000000090B8: D3D8401D 180001A3
	v_mul_f32_e32 v28, s47, v28                                // 0000000090C0: 0A38382F
	v_mul_f32_e32 v29, s47, v29                                // 0000000090C4: 0A3A3A2F
	v_cvt_pkrtz_f16_f32 v49, v28, v29                          // 0000000090C8: D2960031 00023B1C
	v_accvgpr_read_b32 v28, a164                               // 0000000090D0: D3D8401C 180001A4
	v_accvgpr_read_b32 v29, a165                               // 0000000090D8: D3D8401D 180001A5
	v_mul_f32_e32 v28, s47, v28                                // 0000000090E0: 0A38382F
	v_mul_f32_e32 v29, s47, v29                                // 0000000090E4: 0A3A3A2F
	v_cvt_pkrtz_f16_f32 v50, v28, v29                          // 0000000090E8: D2960032 00023B1C
	v_accvgpr_read_b32 v28, a166                               // 0000000090F0: D3D8401C 180001A6
	v_accvgpr_read_b32 v29, a167                               // 0000000090F8: D3D8401D 180001A7
	v_mul_f32_e32 v28, s47, v28                                // 000000009100: 0A38382F
	v_mul_f32_e32 v29, s47, v29                                // 000000009104: 0A3A3A2F
	v_cvt_pkrtz_f16_f32 v51, v28, v29                          // 000000009108: D2960033 00023B1C
	v_accvgpr_read_b32 v28, a168                               // 000000009110: D3D8401C 180001A8
	v_accvgpr_read_b32 v29, a169                               // 000000009118: D3D8401D 180001A9
	v_mul_f32_e32 v28, s47, v28                                // 000000009120: 0A38382F
	v_mul_f32_e32 v29, s47, v29                                // 000000009124: 0A3A3A2F
	v_cvt_pkrtz_f16_f32 v52, v28, v29                          // 000000009128: D2960034 00023B1C
	v_accvgpr_read_b32 v28, a170                               // 000000009130: D3D8401C 180001AA
	v_accvgpr_read_b32 v29, a171                               // 000000009138: D3D8401D 180001AB
	v_mul_f32_e32 v28, s47, v28                                // 000000009140: 0A38382F
	v_mul_f32_e32 v29, s47, v29                                // 000000009144: 0A3A3A2F
	v_cvt_pkrtz_f16_f32 v53, v28, v29                          // 000000009148: D2960035 00023B1C
	v_accvgpr_read_b32 v28, a172                               // 000000009150: D3D8401C 180001AC
	v_accvgpr_read_b32 v29, a173                               // 000000009158: D3D8401D 180001AD
	v_mul_f32_e32 v28, s47, v28                                // 000000009160: 0A38382F
	v_mul_f32_e32 v29, s47, v29                                // 000000009164: 0A3A3A2F
	v_cvt_pkrtz_f16_f32 v54, v28, v29                          // 000000009168: D2960036 00023B1C
	v_accvgpr_read_b32 v28, a174                               // 000000009170: D3D8401C 180001AE
	v_accvgpr_read_b32 v29, a175                               // 000000009178: D3D8401D 180001AF
	v_mul_f32_e32 v28, s47, v28                                // 000000009180: 0A38382F
	v_mul_f32_e32 v29, s47, v29                                // 000000009184: 0A3A3A2F
	v_cvt_pkrtz_f16_f32 v55, v28, v29                          // 000000009188: D2960037 00023B1C
	v_accvgpr_read_b32 v28, a176                               // 000000009190: D3D8401C 180001B0
	v_accvgpr_read_b32 v29, a177                               // 000000009198: D3D8401D 180001B1
	v_mul_f32_e32 v28, s47, v28                                // 0000000091A0: 0A38382F
	v_mul_f32_e32 v29, s47, v29                                // 0000000091A4: 0A3A3A2F
	v_cvt_pkrtz_f16_f32 v56, v28, v29                          // 0000000091A8: D2960038 00023B1C
	v_accvgpr_read_b32 v28, a178                               // 0000000091B0: D3D8401C 180001B2
	v_accvgpr_read_b32 v29, a179                               // 0000000091B8: D3D8401D 180001B3
	v_mul_f32_e32 v28, s47, v28                                // 0000000091C0: 0A38382F
	v_mul_f32_e32 v29, s47, v29                                // 0000000091C4: 0A3A3A2F
	v_cvt_pkrtz_f16_f32 v57, v28, v29                          // 0000000091C8: D2960039 00023B1C
	v_accvgpr_read_b32 v28, a180                               // 0000000091D0: D3D8401C 180001B4
	v_accvgpr_read_b32 v29, a181                               // 0000000091D8: D3D8401D 180001B5
	v_mul_f32_e32 v28, s47, v28                                // 0000000091E0: 0A38382F
	v_mul_f32_e32 v29, s47, v29                                // 0000000091E4: 0A3A3A2F
	v_cvt_pkrtz_f16_f32 v58, v28, v29                          // 0000000091E8: D296003A 00023B1C
	v_accvgpr_read_b32 v28, a182                               // 0000000091F0: D3D8401C 180001B6
	v_accvgpr_read_b32 v29, a183                               // 0000000091F8: D3D8401D 180001B7
	v_mul_f32_e32 v28, s47, v28                                // 000000009200: 0A38382F
	v_mul_f32_e32 v29, s47, v29                                // 000000009204: 0A3A3A2F
	v_cvt_pkrtz_f16_f32 v59, v28, v29                          // 000000009208: D296003B 00023B1C
	v_accvgpr_read_b32 v28, a184                               // 000000009210: D3D8401C 180001B8
	v_accvgpr_read_b32 v29, a185                               // 000000009218: D3D8401D 180001B9
	v_mul_f32_e32 v28, s47, v28                                // 000000009220: 0A38382F
	v_mul_f32_e32 v29, s47, v29                                // 000000009224: 0A3A3A2F
	v_cvt_pkrtz_f16_f32 v60, v28, v29                          // 000000009228: D296003C 00023B1C
	v_accvgpr_read_b32 v28, a186                               // 000000009230: D3D8401C 180001BA
	v_accvgpr_read_b32 v29, a187                               // 000000009238: D3D8401D 180001BB
	v_mul_f32_e32 v28, s47, v28                                // 000000009240: 0A38382F
	v_mul_f32_e32 v29, s47, v29                                // 000000009244: 0A3A3A2F
	v_cvt_pkrtz_f16_f32 v61, v28, v29                          // 000000009248: D296003D 00023B1C
	v_accvgpr_read_b32 v28, a188                               // 000000009250: D3D8401C 180001BC
	v_accvgpr_read_b32 v29, a189                               // 000000009258: D3D8401D 180001BD
	v_mul_f32_e32 v28, s47, v28                                // 000000009260: 0A38382F
	v_mul_f32_e32 v29, s47, v29                                // 000000009264: 0A3A3A2F
	v_cvt_pkrtz_f16_f32 v62, v28, v29                          // 000000009268: D296003E 00023B1C
	v_accvgpr_read_b32 v28, a190                               // 000000009270: D3D8401C 180001BE
	v_accvgpr_read_b32 v29, a191                               // 000000009278: D3D8401D 180001BF
	v_mul_f32_e32 v28, s47, v28                                // 000000009280: 0A38382F
	v_mul_f32_e32 v29, s47, v29                                // 000000009284: 0A3A3A2F
	v_cvt_pkrtz_f16_f32 v63, v28, v29                          // 000000009288: D296003F 00023B1C
	ds_write_b64 v25, v[48:49]                                 // 000000009290: D89A0000 00003019
	ds_write_b64 v25, v[50:51] offset:528                      // 000000009298: D89A0210 00003219
	ds_write_b64 v25, v[52:53] offset:1056                     // 0000000092A0: D89A0420 00003419
	ds_write_b64 v25, v[54:55] offset:1584                     // 0000000092A8: D89A0630 00003619
	ds_write_b64 v25, v[56:57] offset:2112                     // 0000000092B0: D89A0840 00003819
	ds_write_b64 v25, v[58:59] offset:2640                     // 0000000092B8: D89A0A50 00003A19
	ds_write_b64 v25, v[60:61] offset:3168                     // 0000000092C0: D89A0C60 00003C19
	ds_write_b64 v25, v[62:63] offset:3696                     // 0000000092C8: D89A0E70 00003E19
	s_waitcnt lgkmcnt(0)                                       // 0000000092D0: BF8CC07F
	s_barrier                                                  // 0000000092D4: BF8A0000
	ds_read_b64 v[48:49], v24                                  // 0000000092D8: D8EC0000 30000018
	ds_read_b64 v[50:51], v24 offset:128                       // 0000000092E0: D8EC0080 32000018
	ds_read_b64 v[52:53], v24 offset:32                        // 0000000092E8: D8EC0020 34000018
	ds_read_b64 v[54:55], v24 offset:160                       // 0000000092F0: D8EC00A0 36000018
	ds_read_b64 v[56:57], v24 offset:64                        // 0000000092F8: D8EC0040 38000018
	ds_read_b64 v[58:59], v24 offset:192                       // 000000009300: D8EC00C0 3A000018
	ds_read_b64 v[60:61], v24 offset:96                        // 000000009308: D8EC0060 3C000018
	ds_read_b64 v[62:63], v24 offset:224                       // 000000009310: D8EC00E0 3E000018
	s_waitcnt lgkmcnt(0)                                       // 000000009318: BF8CC07F
	s_mov_b32 s70, s52                                         // 00000000931C: BEC60034
	s_mov_b64 exec, s[88:89]                                   // 000000009320: BEFE0158
	buffer_store_dwordx4 v[48:51], v5, s[36:39], 0 idxen       // 000000009324: E07C2000 80093005
	s_mov_b64 exec, s[84:85]                                   // 00000000932C: BEFE0154
	v_add_u32_e32 v5, s70, v5                                  // 000000009330: 680A0A46
	s_mov_b64 exec, s[88:89]                                   // 000000009334: BEFE0158
	buffer_store_dwordx4 v[52:55], v5, s[36:39], 0 idxen       // 000000009338: E07C2000 80093405
	s_mov_b64 exec, s[84:85]                                   // 000000009340: BEFE0154
	v_add_u32_e32 v5, s70, v5                                  // 000000009344: 680A0A46
	s_mov_b64 exec, s[88:89]                                   // 000000009348: BEFE0158
	buffer_store_dwordx4 v[56:59], v5, s[36:39], 0 idxen       // 00000000934C: E07C2000 80093805
	s_mov_b64 exec, s[84:85]                                   // 000000009354: BEFE0154
	v_add_u32_e32 v5, s70, v5                                  // 000000009358: 680A0A46
	s_mov_b64 exec, s[88:89]                                   // 00000000935C: BEFE0158
	buffer_store_dwordx4 v[60:63], v5, s[36:39], 0 idxen       // 000000009360: E07C2000 80093C05
	s_mov_b64 exec, s[84:85]                                   // 000000009368: BEFE0154
	v_add_u32_e32 v5, s70, v5                                  // 00000000936C: 680A0A46
	s_mul_i32 s60, 12, s70                                     // 000000009370: 923C468C
	v_add_u32_e32 v5, s60, v5                                  // 000000009374: 680A0A3C
	s_barrier                                                  // 000000009378: BF8A0000
	s_cmp_ge_i32 1, s73                                        // 00000000937C: BF034981
	s_cbranch_scc1 label_16EF                                  // 000000009380: BF85017A
	v_accvgpr_read_b32 v28, a192                               // 000000009384: D3D8401C 180001C0
	v_accvgpr_read_b32 v29, a193                               // 00000000938C: D3D8401D 180001C1
	v_mul_f32_e32 v28, s47, v28                                // 000000009394: 0A38382F
	v_mul_f32_e32 v29, s47, v29                                // 000000009398: 0A3A3A2F
	v_cvt_pkrtz_f16_f32 v64, v28, v29                          // 00000000939C: D2960040 00023B1C
	v_accvgpr_read_b32 v28, a194                               // 0000000093A4: D3D8401C 180001C2
	v_accvgpr_read_b32 v29, a195                               // 0000000093AC: D3D8401D 180001C3
	v_mul_f32_e32 v28, s47, v28                                // 0000000093B4: 0A38382F
	v_mul_f32_e32 v29, s47, v29                                // 0000000093B8: 0A3A3A2F
	v_cvt_pkrtz_f16_f32 v65, v28, v29                          // 0000000093BC: D2960041 00023B1C
	v_accvgpr_read_b32 v28, a196                               // 0000000093C4: D3D8401C 180001C4
	v_accvgpr_read_b32 v29, a197                               // 0000000093CC: D3D8401D 180001C5
	v_mul_f32_e32 v28, s47, v28                                // 0000000093D4: 0A38382F
	v_mul_f32_e32 v29, s47, v29                                // 0000000093D8: 0A3A3A2F
	v_cvt_pkrtz_f16_f32 v66, v28, v29                          // 0000000093DC: D2960042 00023B1C
	v_accvgpr_read_b32 v28, a198                               // 0000000093E4: D3D8401C 180001C6
	v_accvgpr_read_b32 v29, a199                               // 0000000093EC: D3D8401D 180001C7
	v_mul_f32_e32 v28, s47, v28                                // 0000000093F4: 0A38382F
	v_mul_f32_e32 v29, s47, v29                                // 0000000093F8: 0A3A3A2F
	v_cvt_pkrtz_f16_f32 v67, v28, v29                          // 0000000093FC: D2960043 00023B1C
	v_accvgpr_read_b32 v28, a200                               // 000000009404: D3D8401C 180001C8
	v_accvgpr_read_b32 v29, a201                               // 00000000940C: D3D8401D 180001C9
	v_mul_f32_e32 v28, s47, v28                                // 000000009414: 0A38382F
	v_mul_f32_e32 v29, s47, v29                                // 000000009418: 0A3A3A2F
	v_cvt_pkrtz_f16_f32 v68, v28, v29                          // 00000000941C: D2960044 00023B1C
	v_accvgpr_read_b32 v28, a202                               // 000000009424: D3D8401C 180001CA
	v_accvgpr_read_b32 v29, a203                               // 00000000942C: D3D8401D 180001CB
	v_mul_f32_e32 v28, s47, v28                                // 000000009434: 0A38382F
	v_mul_f32_e32 v29, s47, v29                                // 000000009438: 0A3A3A2F
	v_cvt_pkrtz_f16_f32 v69, v28, v29                          // 00000000943C: D2960045 00023B1C
	v_accvgpr_read_b32 v28, a204                               // 000000009444: D3D8401C 180001CC
	v_accvgpr_read_b32 v29, a205                               // 00000000944C: D3D8401D 180001CD
	v_mul_f32_e32 v28, s47, v28                                // 000000009454: 0A38382F
	v_mul_f32_e32 v29, s47, v29                                // 000000009458: 0A3A3A2F
	v_cvt_pkrtz_f16_f32 v70, v28, v29                          // 00000000945C: D2960046 00023B1C
	v_accvgpr_read_b32 v28, a206                               // 000000009464: D3D8401C 180001CE
	v_accvgpr_read_b32 v29, a207                               // 00000000946C: D3D8401D 180001CF
	v_mul_f32_e32 v28, s47, v28                                // 000000009474: 0A38382F
	v_mul_f32_e32 v29, s47, v29                                // 000000009478: 0A3A3A2F
	v_cvt_pkrtz_f16_f32 v71, v28, v29                          // 00000000947C: D2960047 00023B1C
	v_accvgpr_read_b32 v28, a208                               // 000000009484: D3D8401C 180001D0
	v_accvgpr_read_b32 v29, a209                               // 00000000948C: D3D8401D 180001D1
	v_mul_f32_e32 v28, s47, v28                                // 000000009494: 0A38382F
	v_mul_f32_e32 v29, s47, v29                                // 000000009498: 0A3A3A2F
	v_cvt_pkrtz_f16_f32 v72, v28, v29                          // 00000000949C: D2960048 00023B1C
	v_accvgpr_read_b32 v28, a210                               // 0000000094A4: D3D8401C 180001D2
	v_accvgpr_read_b32 v29, a211                               // 0000000094AC: D3D8401D 180001D3
	v_mul_f32_e32 v28, s47, v28                                // 0000000094B4: 0A38382F
	v_mul_f32_e32 v29, s47, v29                                // 0000000094B8: 0A3A3A2F
	v_cvt_pkrtz_f16_f32 v73, v28, v29                          // 0000000094BC: D2960049 00023B1C
	v_accvgpr_read_b32 v28, a212                               // 0000000094C4: D3D8401C 180001D4
	v_accvgpr_read_b32 v29, a213                               // 0000000094CC: D3D8401D 180001D5
	v_mul_f32_e32 v28, s47, v28                                // 0000000094D4: 0A38382F
	v_mul_f32_e32 v29, s47, v29                                // 0000000094D8: 0A3A3A2F
	v_cvt_pkrtz_f16_f32 v74, v28, v29                          // 0000000094DC: D296004A 00023B1C
	v_accvgpr_read_b32 v28, a214                               // 0000000094E4: D3D8401C 180001D6
	v_accvgpr_read_b32 v29, a215                               // 0000000094EC: D3D8401D 180001D7
	v_mul_f32_e32 v28, s47, v28                                // 0000000094F4: 0A38382F
	v_mul_f32_e32 v29, s47, v29                                // 0000000094F8: 0A3A3A2F
	v_cvt_pkrtz_f16_f32 v75, v28, v29                          // 0000000094FC: D296004B 00023B1C
	v_accvgpr_read_b32 v28, a216                               // 000000009504: D3D8401C 180001D8
	v_accvgpr_read_b32 v29, a217                               // 00000000950C: D3D8401D 180001D9
	v_mul_f32_e32 v28, s47, v28                                // 000000009514: 0A38382F
	v_mul_f32_e32 v29, s47, v29                                // 000000009518: 0A3A3A2F
	v_cvt_pkrtz_f16_f32 v76, v28, v29                          // 00000000951C: D296004C 00023B1C
	v_accvgpr_read_b32 v28, a218                               // 000000009524: D3D8401C 180001DA
	v_accvgpr_read_b32 v29, a219                               // 00000000952C: D3D8401D 180001DB
	v_mul_f32_e32 v28, s47, v28                                // 000000009534: 0A38382F
	v_mul_f32_e32 v29, s47, v29                                // 000000009538: 0A3A3A2F
	v_cvt_pkrtz_f16_f32 v77, v28, v29                          // 00000000953C: D296004D 00023B1C
	v_accvgpr_read_b32 v28, a220                               // 000000009544: D3D8401C 180001DC
	v_accvgpr_read_b32 v29, a221                               // 00000000954C: D3D8401D 180001DD
	v_mul_f32_e32 v28, s47, v28                                // 000000009554: 0A38382F
	v_mul_f32_e32 v29, s47, v29                                // 000000009558: 0A3A3A2F
	v_cvt_pkrtz_f16_f32 v78, v28, v29                          // 00000000955C: D296004E 00023B1C
	v_accvgpr_read_b32 v28, a222                               // 000000009564: D3D8401C 180001DE
	v_accvgpr_read_b32 v29, a223                               // 00000000956C: D3D8401D 180001DF
	v_mul_f32_e32 v28, s47, v28                                // 000000009574: 0A38382F
	v_mul_f32_e32 v29, s47, v29                                // 000000009578: 0A3A3A2F
	v_cvt_pkrtz_f16_f32 v79, v28, v29                          // 00000000957C: D296004F 00023B1C
	ds_write_b64 v25, v[64:65] offset:16896                    // 000000009584: D89A4200 00004019
	ds_write_b64 v25, v[66:67] offset:17424                    // 00000000958C: D89A4410 00004219
	ds_write_b64 v25, v[68:69] offset:17952                    // 000000009594: D89A4620 00004419
	ds_write_b64 v25, v[70:71] offset:18480                    // 00000000959C: D89A4830 00004619
	ds_write_b64 v25, v[72:73] offset:19008                    // 0000000095A4: D89A4A40 00004819
	ds_write_b64 v25, v[74:75] offset:19536                    // 0000000095AC: D89A4C50 00004A19
	ds_write_b64 v25, v[76:77] offset:20064                    // 0000000095B4: D89A4E60 00004C19
	ds_write_b64 v25, v[78:79] offset:20592                    // 0000000095BC: D89A5070 00004E19
	s_waitcnt lgkmcnt(0)                                       // 0000000095C4: BF8CC07F
	s_barrier                                                  // 0000000095C8: BF8A0000
	ds_read_b64 v[64:65], v24 offset:16896                     // 0000000095CC: D8EC4200 40000018
	ds_read_b64 v[66:67], v24 offset:17024                     // 0000000095D4: D8EC4280 42000018
	ds_read_b64 v[68:69], v24 offset:16928                     // 0000000095DC: D8EC4220 44000018
	ds_read_b64 v[70:71], v24 offset:17056                     // 0000000095E4: D8EC42A0 46000018
	ds_read_b64 v[72:73], v24 offset:16960                     // 0000000095EC: D8EC4240 48000018
	ds_read_b64 v[74:75], v24 offset:17088                     // 0000000095F4: D8EC42C0 4A000018
	ds_read_b64 v[76:77], v24 offset:16992                     // 0000000095FC: D8EC4260 4C000018
	ds_read_b64 v[78:79], v24 offset:17120                     // 000000009604: D8EC42E0 4E000018
	s_waitcnt lgkmcnt(0)                                       // 00000000960C: BF8CC07F
	s_mov_b32 s70, s52                                         // 000000009610: BEC60034
	s_mov_b64 exec, s[88:89]                                   // 000000009614: BEFE0158
	buffer_store_dwordx4 v[64:67], v5, s[36:39], 0 idxen       // 000000009618: E07C2000 80094005
	s_mov_b64 exec, s[84:85]                                   // 000000009620: BEFE0154
	v_add_u32_e32 v5, s70, v5                                  // 000000009624: 680A0A46
	s_mov_b64 exec, s[88:89]                                   // 000000009628: BEFE0158
	buffer_store_dwordx4 v[68:71], v5, s[36:39], 0 idxen       // 00000000962C: E07C2000 80094405
	s_mov_b64 exec, s[84:85]                                   // 000000009634: BEFE0154
	v_add_u32_e32 v5, s70, v5                                  // 000000009638: 680A0A46
	s_mov_b64 exec, s[88:89]                                   // 00000000963C: BEFE0158
	buffer_store_dwordx4 v[72:75], v5, s[36:39], 0 idxen       // 000000009640: E07C2000 80094805
	s_mov_b64 exec, s[84:85]                                   // 000000009648: BEFE0154
	v_add_u32_e32 v5, s70, v5                                  // 00000000964C: 680A0A46
	s_mov_b64 exec, s[88:89]                                   // 000000009650: BEFE0158
	buffer_store_dwordx4 v[76:79], v5, s[36:39], 0 idxen       // 000000009654: E07C2000 80094C05
	s_mov_b64 exec, s[84:85]                                   // 00000000965C: BEFE0154
	v_add_u32_e32 v5, s70, v5                                  // 000000009660: 680A0A46
	s_mul_i32 s60, 12, s70                                     // 000000009664: 923C468C
	v_add_u32_e32 v5, s60, v5                                  // 000000009668: 680A0A3C
	s_barrier                                                  // 00000000966C: BF8A0000
	s_cmp_ge_i32 2, s73                                        // 000000009670: BF034982
	s_cbranch_scc1 label_16EF                                  // 000000009674: BF8500BD
	v_accvgpr_read_b32 v28, a224                               // 000000009678: D3D8401C 180001E0
	v_accvgpr_read_b32 v29, a225                               // 000000009680: D3D8401D 180001E1
	v_mul_f32_e32 v28, s47, v28                                // 000000009688: 0A38382F
	v_mul_f32_e32 v29, s47, v29                                // 00000000968C: 0A3A3A2F
	v_cvt_pkrtz_f16_f32 v80, v28, v29                          // 000000009690: D2960050 00023B1C
	v_accvgpr_read_b32 v28, a226                               // 000000009698: D3D8401C 180001E2
	v_accvgpr_read_b32 v29, a227                               // 0000000096A0: D3D8401D 180001E3
	v_mul_f32_e32 v28, s47, v28                                // 0000000096A8: 0A38382F
	v_mul_f32_e32 v29, s47, v29                                // 0000000096AC: 0A3A3A2F
	v_cvt_pkrtz_f16_f32 v81, v28, v29                          // 0000000096B0: D2960051 00023B1C
	v_accvgpr_read_b32 v28, a228                               // 0000000096B8: D3D8401C 180001E4
	v_accvgpr_read_b32 v29, a229                               // 0000000096C0: D3D8401D 180001E5
	v_mul_f32_e32 v28, s47, v28                                // 0000000096C8: 0A38382F
	v_mul_f32_e32 v29, s47, v29                                // 0000000096CC: 0A3A3A2F
	v_cvt_pkrtz_f16_f32 v82, v28, v29                          // 0000000096D0: D2960052 00023B1C
	v_accvgpr_read_b32 v28, a230                               // 0000000096D8: D3D8401C 180001E6
	v_accvgpr_read_b32 v29, a231                               // 0000000096E0: D3D8401D 180001E7
	v_mul_f32_e32 v28, s47, v28                                // 0000000096E8: 0A38382F
	v_mul_f32_e32 v29, s47, v29                                // 0000000096EC: 0A3A3A2F
	v_cvt_pkrtz_f16_f32 v83, v28, v29                          // 0000000096F0: D2960053 00023B1C
	v_accvgpr_read_b32 v28, a232                               // 0000000096F8: D3D8401C 180001E8
	v_accvgpr_read_b32 v29, a233                               // 000000009700: D3D8401D 180001E9
	v_mul_f32_e32 v28, s47, v28                                // 000000009708: 0A38382F
	v_mul_f32_e32 v29, s47, v29                                // 00000000970C: 0A3A3A2F
	v_cvt_pkrtz_f16_f32 v84, v28, v29                          // 000000009710: D2960054 00023B1C
	v_accvgpr_read_b32 v28, a234                               // 000000009718: D3D8401C 180001EA
	v_accvgpr_read_b32 v29, a235                               // 000000009720: D3D8401D 180001EB
	v_mul_f32_e32 v28, s47, v28                                // 000000009728: 0A38382F
	v_mul_f32_e32 v29, s47, v29                                // 00000000972C: 0A3A3A2F
	v_cvt_pkrtz_f16_f32 v85, v28, v29                          // 000000009730: D2960055 00023B1C
	v_accvgpr_read_b32 v28, a236                               // 000000009738: D3D8401C 180001EC
	v_accvgpr_read_b32 v29, a237                               // 000000009740: D3D8401D 180001ED
	v_mul_f32_e32 v28, s47, v28                                // 000000009748: 0A38382F
	v_mul_f32_e32 v29, s47, v29                                // 00000000974C: 0A3A3A2F
	v_cvt_pkrtz_f16_f32 v86, v28, v29                          // 000000009750: D2960056 00023B1C
	v_accvgpr_read_b32 v28, a238                               // 000000009758: D3D8401C 180001EE
	v_accvgpr_read_b32 v29, a239                               // 000000009760: D3D8401D 180001EF
	v_mul_f32_e32 v28, s47, v28                                // 000000009768: 0A38382F
	v_mul_f32_e32 v29, s47, v29                                // 00000000976C: 0A3A3A2F
	v_cvt_pkrtz_f16_f32 v87, v28, v29                          // 000000009770: D2960057 00023B1C
	v_accvgpr_read_b32 v28, a240                               // 000000009778: D3D8401C 180001F0
	v_accvgpr_read_b32 v29, a241                               // 000000009780: D3D8401D 180001F1
	v_mul_f32_e32 v28, s47, v28                                // 000000009788: 0A38382F
	v_mul_f32_e32 v29, s47, v29                                // 00000000978C: 0A3A3A2F
	v_cvt_pkrtz_f16_f32 v88, v28, v29                          // 000000009790: D2960058 00023B1C
	v_accvgpr_read_b32 v28, a242                               // 000000009798: D3D8401C 180001F2
	v_accvgpr_read_b32 v29, a243                               // 0000000097A0: D3D8401D 180001F3
	v_mul_f32_e32 v28, s47, v28                                // 0000000097A8: 0A38382F
	v_mul_f32_e32 v29, s47, v29                                // 0000000097AC: 0A3A3A2F
	v_cvt_pkrtz_f16_f32 v89, v28, v29                          // 0000000097B0: D2960059 00023B1C
	v_accvgpr_read_b32 v28, a244                               // 0000000097B8: D3D8401C 180001F4
	v_accvgpr_read_b32 v29, a245                               // 0000000097C0: D3D8401D 180001F5
	v_mul_f32_e32 v28, s47, v28                                // 0000000097C8: 0A38382F
	v_mul_f32_e32 v29, s47, v29                                // 0000000097CC: 0A3A3A2F
	v_cvt_pkrtz_f16_f32 v90, v28, v29                          // 0000000097D0: D296005A 00023B1C
	v_accvgpr_read_b32 v28, a246                               // 0000000097D8: D3D8401C 180001F6
	v_accvgpr_read_b32 v29, a247                               // 0000000097E0: D3D8401D 180001F7
	v_mul_f32_e32 v28, s47, v28                                // 0000000097E8: 0A38382F
	v_mul_f32_e32 v29, s47, v29                                // 0000000097EC: 0A3A3A2F
	v_cvt_pkrtz_f16_f32 v91, v28, v29                          // 0000000097F0: D296005B 00023B1C
	v_accvgpr_read_b32 v28, a248                               // 0000000097F8: D3D8401C 180001F8
	v_accvgpr_read_b32 v29, a249                               // 000000009800: D3D8401D 180001F9
	v_mul_f32_e32 v28, s47, v28                                // 000000009808: 0A38382F
	v_mul_f32_e32 v29, s47, v29                                // 00000000980C: 0A3A3A2F
	v_cvt_pkrtz_f16_f32 v92, v28, v29                          // 000000009810: D296005C 00023B1C
	v_accvgpr_read_b32 v28, a250                               // 000000009818: D3D8401C 180001FA
	v_accvgpr_read_b32 v29, a251                               // 000000009820: D3D8401D 180001FB
	v_mul_f32_e32 v28, s47, v28                                // 000000009828: 0A38382F
	v_mul_f32_e32 v29, s47, v29                                // 00000000982C: 0A3A3A2F
	v_cvt_pkrtz_f16_f32 v93, v28, v29                          // 000000009830: D296005D 00023B1C
	v_accvgpr_read_b32 v28, a252                               // 000000009838: D3D8401C 180001FC
	v_accvgpr_read_b32 v29, a253                               // 000000009840: D3D8401D 180001FD
	v_mul_f32_e32 v28, s47, v28                                // 000000009848: 0A38382F
	v_mul_f32_e32 v29, s47, v29                                // 00000000984C: 0A3A3A2F
	v_cvt_pkrtz_f16_f32 v94, v28, v29                          // 000000009850: D296005E 00023B1C
	v_accvgpr_read_b32 v28, a254                               // 000000009858: D3D8401C 180001FE
	v_accvgpr_read_b32 v29, a255                               // 000000009860: D3D8401D 180001FF
	v_mul_f32_e32 v28, s47, v28                                // 000000009868: 0A38382F
	v_mul_f32_e32 v29, s47, v29                                // 00000000986C: 0A3A3A2F
	v_cvt_pkrtz_f16_f32 v95, v28, v29                          // 000000009870: D296005F 00023B1C
	ds_write_b64 v25, v[80:81] offset:33792                    // 000000009878: D89A8400 00005019
	ds_write_b64 v25, v[82:83] offset:34320                    // 000000009880: D89A8610 00005219
	ds_write_b64 v25, v[84:85] offset:34848                    // 000000009888: D89A8820 00005419
	ds_write_b64 v25, v[86:87] offset:35376                    // 000000009890: D89A8A30 00005619
	ds_write_b64 v25, v[88:89] offset:35904                    // 000000009898: D89A8C40 00005819
	ds_write_b64 v25, v[90:91] offset:36432                    // 0000000098A0: D89A8E50 00005A19
	ds_write_b64 v25, v[92:93] offset:36960                    // 0000000098A8: D89A9060 00005C19
	ds_write_b64 v25, v[94:95] offset:37488                    // 0000000098B0: D89A9270 00005E19
	s_waitcnt lgkmcnt(0)                                       // 0000000098B8: BF8CC07F
	s_barrier                                                  // 0000000098BC: BF8A0000
	ds_read_b64 v[80:81], v24 offset:33792                     // 0000000098C0: D8EC8400 50000018
	ds_read_b64 v[82:83], v24 offset:33920                     // 0000000098C8: D8EC8480 52000018
	ds_read_b64 v[84:85], v24 offset:33824                     // 0000000098D0: D8EC8420 54000018
	ds_read_b64 v[86:87], v24 offset:33952                     // 0000000098D8: D8EC84A0 56000018
	ds_read_b64 v[88:89], v24 offset:33856                     // 0000000098E0: D8EC8440 58000018
	ds_read_b64 v[90:91], v24 offset:33984                     // 0000000098E8: D8EC84C0 5A000018
	ds_read_b64 v[92:93], v24 offset:33888                     // 0000000098F0: D8EC8460 5C000018
	ds_read_b64 v[94:95], v24 offset:34016                     // 0000000098F8: D8EC84E0 5E000018
	s_waitcnt lgkmcnt(0)                                       // 000000009900: BF8CC07F
	s_mov_b32 s70, s52                                         // 000000009904: BEC60034
	s_mov_b64 exec, s[88:89]                                   // 000000009908: BEFE0158
	buffer_store_dwordx4 v[80:83], v5, s[36:39], 0 idxen       // 00000000990C: E07C2000 80095005
	s_mov_b64 exec, s[84:85]                                   // 000000009914: BEFE0154
	v_add_u32_e32 v5, s70, v5                                  // 000000009918: 680A0A46
	s_mov_b64 exec, s[88:89]                                   // 00000000991C: BEFE0158
	buffer_store_dwordx4 v[84:87], v5, s[36:39], 0 idxen       // 000000009920: E07C2000 80095405
	s_mov_b64 exec, s[84:85]                                   // 000000009928: BEFE0154
	v_add_u32_e32 v5, s70, v5                                  // 00000000992C: 680A0A46
	s_mov_b64 exec, s[88:89]                                   // 000000009930: BEFE0158
	buffer_store_dwordx4 v[88:91], v5, s[36:39], 0 idxen       // 000000009934: E07C2000 80095805
	s_mov_b64 exec, s[84:85]                                   // 00000000993C: BEFE0154
	v_add_u32_e32 v5, s70, v5                                  // 000000009940: 680A0A46
	s_mov_b64 exec, s[88:89]                                   // 000000009944: BEFE0158
	buffer_store_dwordx4 v[92:95], v5, s[36:39], 0 idxen       // 000000009948: E07C2000 80095C05
	s_mov_b64 exec, s[84:85]                                   // 000000009950: BEFE0154
	v_add_u32_e32 v5, s70, v5                                  // 000000009954: 680A0A46
	s_mul_i32 s60, 12, s70                                     // 000000009958: 923C468C
	v_add_u32_e32 v5, s60, v5                                  // 00000000995C: 680A0A3C
	s_barrier                                                  // 000000009960: BF8A0000
	s_cmp_ge_i32 3, s73                                        // 000000009964: BF034983
	s_cbranch_scc1 label_16EF                                  // 000000009968: BF850000

000000000000996c <label_16EF>:
	v_mov_b32_e32 v28, v152                                    // 00000000996C: 7E380398
	v_mov_b32_e32 v29, v153                                    // 000000009970: 7E3A0399
	v_cvt_pkrtz_f16_f32 v152, v28, v29                         // 000000009974: D2960098 00023B1C
	v_mov_b32_e32 v28, v154                                    // 00000000997C: 7E38039A
	v_mov_b32_e32 v29, v155                                    // 000000009980: 7E3A039B
	v_cvt_pkrtz_f16_f32 v153, v28, v29                         // 000000009984: D2960099 00023B1C
	v_mov_b32_e32 v28, v156                                    // 00000000998C: 7E38039C
	v_mov_b32_e32 v29, v157                                    // 000000009990: 7E3A039D
	v_cvt_pkrtz_f16_f32 v154, v28, v29                         // 000000009994: D296009A 00023B1C
	v_mov_b32_e32 v28, v158                                    // 00000000999C: 7E38039E
	v_mov_b32_e32 v29, v159                                    // 0000000099A0: 7E3A039F
	v_cvt_pkrtz_f16_f32 v155, v28, v29                         // 0000000099A4: D296009B 00023B1C
	v_mov_b32_e32 v28, v160                                    // 0000000099AC: 7E3803A0
	v_mov_b32_e32 v29, v161                                    // 0000000099B0: 7E3A03A1
	v_cvt_pkrtz_f16_f32 v156, v28, v29                         // 0000000099B4: D296009C 00023B1C
	v_mov_b32_e32 v28, v162                                    // 0000000099BC: 7E3803A2
	v_mov_b32_e32 v29, v163                                    // 0000000099C0: 7E3A03A3
	v_cvt_pkrtz_f16_f32 v157, v28, v29                         // 0000000099C4: D296009D 00023B1C
	v_mov_b32_e32 v28, v164                                    // 0000000099CC: 7E3803A4
	v_mov_b32_e32 v29, v165                                    // 0000000099D0: 7E3A03A5
	v_cvt_pkrtz_f16_f32 v158, v28, v29                         // 0000000099D4: D296009E 00023B1C
	v_mov_b32_e32 v28, v166                                    // 0000000099DC: 7E3803A6
	v_mov_b32_e32 v29, v167                                    // 0000000099E0: 7E3A03A7
	v_cvt_pkrtz_f16_f32 v159, v28, v29                         // 0000000099E4: D296009F 00023B1C
	v_mov_b32_e32 v28, v168                                    // 0000000099EC: 7E3803A8
	v_mov_b32_e32 v29, v169                                    // 0000000099F0: 7E3A03A9
	v_cvt_pkrtz_f16_f32 v160, v28, v29                         // 0000000099F4: D29600A0 00023B1C
	v_mov_b32_e32 v28, v170                                    // 0000000099FC: 7E3803AA
	v_mov_b32_e32 v29, v171                                    // 000000009A00: 7E3A03AB
	v_cvt_pkrtz_f16_f32 v161, v28, v29                         // 000000009A04: D29600A1 00023B1C
	v_mov_b32_e32 v28, v172                                    // 000000009A0C: 7E3803AC
	v_mov_b32_e32 v29, v173                                    // 000000009A10: 7E3A03AD
	v_cvt_pkrtz_f16_f32 v162, v28, v29                         // 000000009A14: D29600A2 00023B1C
	v_mov_b32_e32 v28, v174                                    // 000000009A1C: 7E3803AE
	v_mov_b32_e32 v29, v175                                    // 000000009A20: 7E3A03AF
	v_cvt_pkrtz_f16_f32 v163, v28, v29                         // 000000009A24: D29600A3 00023B1C
	v_mov_b32_e32 v28, v176                                    // 000000009A2C: 7E3803B0
	v_mov_b32_e32 v29, v177                                    // 000000009A30: 7E3A03B1
	v_cvt_pkrtz_f16_f32 v164, v28, v29                         // 000000009A34: D29600A4 00023B1C
	v_mov_b32_e32 v28, v178                                    // 000000009A3C: 7E3803B2
	v_mov_b32_e32 v29, v179                                    // 000000009A40: 7E3A03B3
	v_cvt_pkrtz_f16_f32 v165, v28, v29                         // 000000009A44: D29600A5 00023B1C
	v_mov_b32_e32 v28, v180                                    // 000000009A4C: 7E3803B4
	v_mov_b32_e32 v29, v181                                    // 000000009A50: 7E3A03B5
	v_cvt_pkrtz_f16_f32 v166, v28, v29                         // 000000009A54: D29600A6 00023B1C
	v_mov_b32_e32 v28, v182                                    // 000000009A5C: 7E3803B6
	v_mov_b32_e32 v29, v183                                    // 000000009A60: 7E3A03B7
	v_cvt_pkrtz_f16_f32 v167, v28, v29                         // 000000009A64: D29600A7 00023B1C
	ds_write_b64 v25, v[152:153]                               // 000000009A6C: D89A0000 00009819
	ds_write_b64 v25, v[154:155] offset:528                    // 000000009A74: D89A0210 00009A19
	ds_write_b64 v25, v[156:157] offset:1056                   // 000000009A7C: D89A0420 00009C19
	ds_write_b64 v25, v[158:159] offset:1584                   // 000000009A84: D89A0630 00009E19
	ds_write_b64 v25, v[160:161] offset:2112                   // 000000009A8C: D89A0840 0000A019
	ds_write_b64 v25, v[162:163] offset:2640                   // 000000009A94: D89A0A50 0000A219
	ds_write_b64 v25, v[164:165] offset:3168                   // 000000009A9C: D89A0C60 0000A419
	ds_write_b64 v25, v[166:167] offset:3696                   // 000000009AA4: D89A0E70 0000A619
	s_waitcnt lgkmcnt(0)                                       // 000000009AAC: BF8CC07F
	s_barrier                                                  // 000000009AB0: BF8A0000
	ds_read_b64 v[152:153], v24                                // 000000009AB4: D8EC0000 98000018
	ds_read_b64 v[154:155], v24 offset:128                     // 000000009ABC: D8EC0080 9A000018
	ds_read_b64 v[156:157], v24 offset:32                      // 000000009AC4: D8EC0020 9C000018
	ds_read_b64 v[158:159], v24 offset:160                     // 000000009ACC: D8EC00A0 9E000018
	ds_read_b64 v[160:161], v24 offset:64                      // 000000009AD4: D8EC0040 A0000018
	ds_read_b64 v[162:163], v24 offset:192                     // 000000009ADC: D8EC00C0 A2000018
	ds_read_b64 v[164:165], v24 offset:96                      // 000000009AE4: D8EC0060 A4000018
	ds_read_b64 v[166:167], v24 offset:224                     // 000000009AEC: D8EC00E0 A6000018
	s_waitcnt lgkmcnt(0)                                       // 000000009AF4: BF8CC07F
	s_mov_b32 s70, s53                                         // 000000009AF8: BEC60035
	s_mov_b64 exec, s[88:89]                                   // 000000009AFC: BEFE0158
	buffer_store_dwordx4 v[152:155], v6, s[40:43], 0 idxen     // 000000009B00: E07C2000 800A9806
	s_mov_b64 exec, s[84:85]                                   // 000000009B08: BEFE0154
	v_add_u32_e32 v6, s70, v6                                  // 000000009B0C: 680C0C46
	s_mov_b64 exec, s[88:89]                                   // 000000009B10: BEFE0158
	buffer_store_dwordx4 v[156:159], v6, s[40:43], 0 idxen     // 000000009B14: E07C2000 800A9C06
	s_mov_b64 exec, s[84:85]                                   // 000000009B1C: BEFE0154
	v_add_u32_e32 v6, s70, v6                                  // 000000009B20: 680C0C46
	s_mov_b64 exec, s[88:89]                                   // 000000009B24: BEFE0158
	buffer_store_dwordx4 v[160:163], v6, s[40:43], 0 idxen     // 000000009B28: E07C2000 800AA006
	s_mov_b64 exec, s[84:85]                                   // 000000009B30: BEFE0154
	v_add_u32_e32 v6, s70, v6                                  // 000000009B34: 680C0C46
	s_mov_b64 exec, s[88:89]                                   // 000000009B38: BEFE0158
	buffer_store_dwordx4 v[164:167], v6, s[40:43], 0 idxen     // 000000009B3C: E07C2000 800AA406
	s_mov_b64 exec, s[84:85]                                   // 000000009B44: BEFE0154
	v_add_u32_e32 v6, s70, v6                                  // 000000009B48: 680C0C46
	s_mul_i32 s60, 12, s70                                     // 000000009B4C: 923C468C
	v_add_u32_e32 v6, s60, v6                                  // 000000009B50: 680C0C3C
	s_cmp_ge_i32 1, s73                                        // 000000009B54: BF034981
	s_cbranch_scc1 label_1863                                  // 000000009B58: BF8500F8
	v_mov_b32_e32 v28, v184                                    // 000000009B5C: 7E3803B8
	v_mov_b32_e32 v29, v185                                    // 000000009B60: 7E3A03B9
	v_cvt_pkrtz_f16_f32 v168, v28, v29                         // 000000009B64: D29600A8 00023B1C
	v_mov_b32_e32 v28, v186                                    // 000000009B6C: 7E3803BA
	v_mov_b32_e32 v29, v187                                    // 000000009B70: 7E3A03BB
	v_cvt_pkrtz_f16_f32 v169, v28, v29                         // 000000009B74: D29600A9 00023B1C
	v_mov_b32_e32 v28, v188                                    // 000000009B7C: 7E3803BC
	v_mov_b32_e32 v29, v189                                    // 000000009B80: 7E3A03BD
	v_cvt_pkrtz_f16_f32 v170, v28, v29                         // 000000009B84: D29600AA 00023B1C
	v_mov_b32_e32 v28, v190                                    // 000000009B8C: 7E3803BE
	v_mov_b32_e32 v29, v191                                    // 000000009B90: 7E3A03BF
	v_cvt_pkrtz_f16_f32 v171, v28, v29                         // 000000009B94: D29600AB 00023B1C
	v_mov_b32_e32 v28, v192                                    // 000000009B9C: 7E3803C0
	v_mov_b32_e32 v29, v193                                    // 000000009BA0: 7E3A03C1
	v_cvt_pkrtz_f16_f32 v172, v28, v29                         // 000000009BA4: D29600AC 00023B1C
	v_mov_b32_e32 v28, v194                                    // 000000009BAC: 7E3803C2
	v_mov_b32_e32 v29, v195                                    // 000000009BB0: 7E3A03C3
	v_cvt_pkrtz_f16_f32 v173, v28, v29                         // 000000009BB4: D29600AD 00023B1C
	v_mov_b32_e32 v28, v196                                    // 000000009BBC: 7E3803C4
	v_mov_b32_e32 v29, v197                                    // 000000009BC0: 7E3A03C5
	v_cvt_pkrtz_f16_f32 v174, v28, v29                         // 000000009BC4: D29600AE 00023B1C
	v_mov_b32_e32 v28, v198                                    // 000000009BCC: 7E3803C6
	v_mov_b32_e32 v29, v199                                    // 000000009BD0: 7E3A03C7
	v_cvt_pkrtz_f16_f32 v175, v28, v29                         // 000000009BD4: D29600AF 00023B1C
	v_mov_b32_e32 v28, v200                                    // 000000009BDC: 7E3803C8
	v_mov_b32_e32 v29, v201                                    // 000000009BE0: 7E3A03C9
	v_cvt_pkrtz_f16_f32 v176, v28, v29                         // 000000009BE4: D29600B0 00023B1C
	v_mov_b32_e32 v28, v202                                    // 000000009BEC: 7E3803CA
	v_mov_b32_e32 v29, v203                                    // 000000009BF0: 7E3A03CB
	v_cvt_pkrtz_f16_f32 v177, v28, v29                         // 000000009BF4: D29600B1 00023B1C
	v_mov_b32_e32 v28, v204                                    // 000000009BFC: 7E3803CC
	v_mov_b32_e32 v29, v205                                    // 000000009C00: 7E3A03CD
	v_cvt_pkrtz_f16_f32 v178, v28, v29                         // 000000009C04: D29600B2 00023B1C
	v_mov_b32_e32 v28, v206                                    // 000000009C0C: 7E3803CE
	v_mov_b32_e32 v29, v207                                    // 000000009C10: 7E3A03CF
	v_cvt_pkrtz_f16_f32 v179, v28, v29                         // 000000009C14: D29600B3 00023B1C
	v_mov_b32_e32 v28, v208                                    // 000000009C1C: 7E3803D0
	v_mov_b32_e32 v29, v209                                    // 000000009C20: 7E3A03D1
	v_cvt_pkrtz_f16_f32 v180, v28, v29                         // 000000009C24: D29600B4 00023B1C
	v_mov_b32_e32 v28, v210                                    // 000000009C2C: 7E3803D2
	v_mov_b32_e32 v29, v211                                    // 000000009C30: 7E3A03D3
	v_cvt_pkrtz_f16_f32 v181, v28, v29                         // 000000009C34: D29600B5 00023B1C
	v_mov_b32_e32 v28, v212                                    // 000000009C3C: 7E3803D4
	v_mov_b32_e32 v29, v213                                    // 000000009C40: 7E3A03D5
	v_cvt_pkrtz_f16_f32 v182, v28, v29                         // 000000009C44: D29600B6 00023B1C
	v_mov_b32_e32 v28, v214                                    // 000000009C4C: 7E3803D6
	v_mov_b32_e32 v29, v215                                    // 000000009C50: 7E3A03D7
	v_cvt_pkrtz_f16_f32 v183, v28, v29                         // 000000009C54: D29600B7 00023B1C
	ds_write_b64 v25, v[168:169] offset:16896                  // 000000009C5C: D89A4200 0000A819
	ds_write_b64 v25, v[170:171] offset:17424                  // 000000009C64: D89A4410 0000AA19
	ds_write_b64 v25, v[172:173] offset:17952                  // 000000009C6C: D89A4620 0000AC19
	ds_write_b64 v25, v[174:175] offset:18480                  // 000000009C74: D89A4830 0000AE19
	ds_write_b64 v25, v[176:177] offset:19008                  // 000000009C7C: D89A4A40 0000B019
	ds_write_b64 v25, v[178:179] offset:19536                  // 000000009C84: D89A4C50 0000B219
	ds_write_b64 v25, v[180:181] offset:20064                  // 000000009C8C: D89A4E60 0000B419
	ds_write_b64 v25, v[182:183] offset:20592                  // 000000009C94: D89A5070 0000B619
	s_waitcnt lgkmcnt(0)                                       // 000000009C9C: BF8CC07F
	s_barrier                                                  // 000000009CA0: BF8A0000
	ds_read_b64 v[168:169], v24 offset:16896                   // 000000009CA4: D8EC4200 A8000018
	ds_read_b64 v[170:171], v24 offset:17024                   // 000000009CAC: D8EC4280 AA000018
	ds_read_b64 v[172:173], v24 offset:16928                   // 000000009CB4: D8EC4220 AC000018
	ds_read_b64 v[174:175], v24 offset:17056                   // 000000009CBC: D8EC42A0 AE000018
	ds_read_b64 v[176:177], v24 offset:16960                   // 000000009CC4: D8EC4240 B0000018
	ds_read_b64 v[178:179], v24 offset:17088                   // 000000009CCC: D8EC42C0 B2000018
	ds_read_b64 v[180:181], v24 offset:16992                   // 000000009CD4: D8EC4260 B4000018
	ds_read_b64 v[182:183], v24 offset:17120                   // 000000009CDC: D8EC42E0 B6000018
	s_waitcnt lgkmcnt(0)                                       // 000000009CE4: BF8CC07F
	s_mov_b32 s70, s53                                         // 000000009CE8: BEC60035
	s_mov_b64 exec, s[88:89]                                   // 000000009CEC: BEFE0158
	buffer_store_dwordx4 v[168:171], v6, s[40:43], 0 idxen     // 000000009CF0: E07C2000 800AA806
	s_mov_b64 exec, s[84:85]                                   // 000000009CF8: BEFE0154
	v_add_u32_e32 v6, s70, v6                                  // 000000009CFC: 680C0C46
	s_mov_b64 exec, s[88:89]                                   // 000000009D00: BEFE0158
	buffer_store_dwordx4 v[172:175], v6, s[40:43], 0 idxen     // 000000009D04: E07C2000 800AAC06
	s_mov_b64 exec, s[84:85]                                   // 000000009D0C: BEFE0154
	v_add_u32_e32 v6, s70, v6                                  // 000000009D10: 680C0C46
	s_mov_b64 exec, s[88:89]                                   // 000000009D14: BEFE0158
	buffer_store_dwordx4 v[176:179], v6, s[40:43], 0 idxen     // 000000009D18: E07C2000 800AB006
	s_mov_b64 exec, s[84:85]                                   // 000000009D20: BEFE0154
	v_add_u32_e32 v6, s70, v6                                  // 000000009D24: 680C0C46
	s_mov_b64 exec, s[88:89]                                   // 000000009D28: BEFE0158
	buffer_store_dwordx4 v[180:183], v6, s[40:43], 0 idxen     // 000000009D2C: E07C2000 800AB406
	s_mov_b64 exec, s[84:85]                                   // 000000009D34: BEFE0154
	v_add_u32_e32 v6, s70, v6                                  // 000000009D38: 680C0C46
	s_mul_i32 s60, 12, s70                                     // 000000009D3C: 923C468C
	v_add_u32_e32 v6, s60, v6                                  // 000000009D40: 680C0C3C
	s_cmp_ge_i32 2, s73                                        // 000000009D44: BF034982
	s_cbranch_scc1 label_1863                                  // 000000009D48: BF85007C
	v_mov_b32_e32 v28, v216                                    // 000000009D4C: 7E3803D8
	v_mov_b32_e32 v29, v217                                    // 000000009D50: 7E3A03D9
	v_cvt_pkrtz_f16_f32 v184, v28, v29                         // 000000009D54: D29600B8 00023B1C
	v_mov_b32_e32 v28, v218                                    // 000000009D5C: 7E3803DA
	v_mov_b32_e32 v29, v219                                    // 000000009D60: 7E3A03DB
	v_cvt_pkrtz_f16_f32 v185, v28, v29                         // 000000009D64: D29600B9 00023B1C
	v_mov_b32_e32 v28, v220                                    // 000000009D6C: 7E3803DC
	v_mov_b32_e32 v29, v221                                    // 000000009D70: 7E3A03DD
	v_cvt_pkrtz_f16_f32 v186, v28, v29                         // 000000009D74: D29600BA 00023B1C
	v_mov_b32_e32 v28, v222                                    // 000000009D7C: 7E3803DE
	v_mov_b32_e32 v29, v223                                    // 000000009D80: 7E3A03DF
	v_cvt_pkrtz_f16_f32 v187, v28, v29                         // 000000009D84: D29600BB 00023B1C
	v_mov_b32_e32 v28, v224                                    // 000000009D8C: 7E3803E0
	v_mov_b32_e32 v29, v225                                    // 000000009D90: 7E3A03E1
	v_cvt_pkrtz_f16_f32 v188, v28, v29                         // 000000009D94: D29600BC 00023B1C
	v_mov_b32_e32 v28, v226                                    // 000000009D9C: 7E3803E2
	v_mov_b32_e32 v29, v227                                    // 000000009DA0: 7E3A03E3
	v_cvt_pkrtz_f16_f32 v189, v28, v29                         // 000000009DA4: D29600BD 00023B1C
	v_mov_b32_e32 v28, v228                                    // 000000009DAC: 7E3803E4
	v_mov_b32_e32 v29, v229                                    // 000000009DB0: 7E3A03E5
	v_cvt_pkrtz_f16_f32 v190, v28, v29                         // 000000009DB4: D29600BE 00023B1C
	v_mov_b32_e32 v28, v230                                    // 000000009DBC: 7E3803E6
	v_mov_b32_e32 v29, v231                                    // 000000009DC0: 7E3A03E7
	v_cvt_pkrtz_f16_f32 v191, v28, v29                         // 000000009DC4: D29600BF 00023B1C
	v_mov_b32_e32 v28, v232                                    // 000000009DCC: 7E3803E8
	v_mov_b32_e32 v29, v233                                    // 000000009DD0: 7E3A03E9
	v_cvt_pkrtz_f16_f32 v192, v28, v29                         // 000000009DD4: D29600C0 00023B1C
	v_mov_b32_e32 v28, v234                                    // 000000009DDC: 7E3803EA
	v_mov_b32_e32 v29, v235                                    // 000000009DE0: 7E3A03EB
	v_cvt_pkrtz_f16_f32 v193, v28, v29                         // 000000009DE4: D29600C1 00023B1C
	v_mov_b32_e32 v28, v236                                    // 000000009DEC: 7E3803EC
	v_mov_b32_e32 v29, v237                                    // 000000009DF0: 7E3A03ED
	v_cvt_pkrtz_f16_f32 v194, v28, v29                         // 000000009DF4: D29600C2 00023B1C
	v_mov_b32_e32 v28, v238                                    // 000000009DFC: 7E3803EE
	v_mov_b32_e32 v29, v239                                    // 000000009E00: 7E3A03EF
	v_cvt_pkrtz_f16_f32 v195, v28, v29                         // 000000009E04: D29600C3 00023B1C
	v_mov_b32_e32 v28, v240                                    // 000000009E0C: 7E3803F0
	v_mov_b32_e32 v29, v241                                    // 000000009E10: 7E3A03F1
	v_cvt_pkrtz_f16_f32 v196, v28, v29                         // 000000009E14: D29600C4 00023B1C
	v_mov_b32_e32 v28, v242                                    // 000000009E1C: 7E3803F2
	v_mov_b32_e32 v29, v243                                    // 000000009E20: 7E3A03F3
	v_cvt_pkrtz_f16_f32 v197, v28, v29                         // 000000009E24: D29600C5 00023B1C
	v_mov_b32_e32 v28, v244                                    // 000000009E2C: 7E3803F4
	v_mov_b32_e32 v29, v245                                    // 000000009E30: 7E3A03F5
	v_cvt_pkrtz_f16_f32 v198, v28, v29                         // 000000009E34: D29600C6 00023B1C
	v_mov_b32_e32 v28, v246                                    // 000000009E3C: 7E3803F6
	v_mov_b32_e32 v29, v247                                    // 000000009E40: 7E3A03F7
	v_cvt_pkrtz_f16_f32 v199, v28, v29                         // 000000009E44: D29600C7 00023B1C
	ds_write_b64 v25, v[184:185] offset:33792                  // 000000009E4C: D89A8400 0000B819
	ds_write_b64 v25, v[186:187] offset:34320                  // 000000009E54: D89A8610 0000BA19
	ds_write_b64 v25, v[188:189] offset:34848                  // 000000009E5C: D89A8820 0000BC19
	ds_write_b64 v25, v[190:191] offset:35376                  // 000000009E64: D89A8A30 0000BE19
	ds_write_b64 v25, v[192:193] offset:35904                  // 000000009E6C: D89A8C40 0000C019
	ds_write_b64 v25, v[194:195] offset:36432                  // 000000009E74: D89A8E50 0000C219
	ds_write_b64 v25, v[196:197] offset:36960                  // 000000009E7C: D89A9060 0000C419
	ds_write_b64 v25, v[198:199] offset:37488                  // 000000009E84: D89A9270 0000C619
	s_waitcnt lgkmcnt(0)                                       // 000000009E8C: BF8CC07F
	s_barrier                                                  // 000000009E90: BF8A0000
	ds_read_b64 v[184:185], v24 offset:33792                   // 000000009E94: D8EC8400 B8000018
	ds_read_b64 v[186:187], v24 offset:33920                   // 000000009E9C: D8EC8480 BA000018
	ds_read_b64 v[188:189], v24 offset:33824                   // 000000009EA4: D8EC8420 BC000018
	ds_read_b64 v[190:191], v24 offset:33952                   // 000000009EAC: D8EC84A0 BE000018
	ds_read_b64 v[192:193], v24 offset:33856                   // 000000009EB4: D8EC8440 C0000018
	ds_read_b64 v[194:195], v24 offset:33984                   // 000000009EBC: D8EC84C0 C2000018
	ds_read_b64 v[196:197], v24 offset:33888                   // 000000009EC4: D8EC8460 C4000018
	ds_read_b64 v[198:199], v24 offset:34016                   // 000000009ECC: D8EC84E0 C6000018
	s_waitcnt lgkmcnt(0)                                       // 000000009ED4: BF8CC07F
	s_mov_b32 s70, s53                                         // 000000009ED8: BEC60035
	s_mov_b64 exec, s[88:89]                                   // 000000009EDC: BEFE0158
	buffer_store_dwordx4 v[184:187], v6, s[40:43], 0 idxen     // 000000009EE0: E07C2000 800AB806
	s_mov_b64 exec, s[84:85]                                   // 000000009EE8: BEFE0154
	v_add_u32_e32 v6, s70, v6                                  // 000000009EEC: 680C0C46
	s_mov_b64 exec, s[88:89]                                   // 000000009EF0: BEFE0158
	buffer_store_dwordx4 v[188:191], v6, s[40:43], 0 idxen     // 000000009EF4: E07C2000 800ABC06
	s_mov_b64 exec, s[84:85]                                   // 000000009EFC: BEFE0154
	v_add_u32_e32 v6, s70, v6                                  // 000000009F00: 680C0C46
	s_mov_b64 exec, s[88:89]                                   // 000000009F04: BEFE0158
	buffer_store_dwordx4 v[192:195], v6, s[40:43], 0 idxen     // 000000009F08: E07C2000 800AC006
	s_mov_b64 exec, s[84:85]                                   // 000000009F10: BEFE0154
	v_add_u32_e32 v6, s70, v6                                  // 000000009F14: 680C0C46
	s_mov_b64 exec, s[88:89]                                   // 000000009F18: BEFE0158
	buffer_store_dwordx4 v[196:199], v6, s[40:43], 0 idxen     // 000000009F1C: E07C2000 800AC406
	s_mov_b64 exec, s[84:85]                                   // 000000009F24: BEFE0154
	v_add_u32_e32 v6, s70, v6                                  // 000000009F28: 680C0C46
	s_mul_i32 s60, 12, s70                                     // 000000009F2C: 923C468C
	v_add_u32_e32 v6, s60, v6                                  // 000000009F30: 680C0C3C
	s_cmp_ge_i32 3, s73                                        // 000000009F34: BF034983
	s_cbranch_scc1 label_1863                                  // 000000009F38: BF850000

0000000000009f3c <label_1863>:
	s_waitcnt vmcnt(0) expcnt(0) lgkmcnt(0)                    // 000000009F3C: BF8C0000
	s_endpgm                                                   // 000000009F40: BF810000
